;; amdgpu-corpus repo=ROCm/rocFFT kind=compiled arch=gfx1030 opt=O3
	.text
	.amdgcn_target "amdgcn-amd-amdhsa--gfx1030"
	.amdhsa_code_object_version 6
	.protected	bluestein_single_fwd_len1326_dim1_sp_op_CI_CI ; -- Begin function bluestein_single_fwd_len1326_dim1_sp_op_CI_CI
	.globl	bluestein_single_fwd_len1326_dim1_sp_op_CI_CI
	.p2align	8
	.type	bluestein_single_fwd_len1326_dim1_sp_op_CI_CI,@function
bluestein_single_fwd_len1326_dim1_sp_op_CI_CI: ; @bluestein_single_fwd_len1326_dim1_sp_op_CI_CI
; %bb.0:
	s_load_dwordx4 s[0:3], s[4:5], 0x28
	v_mul_u32_u24_e32 v1, 0x283, v0
	v_mov_b32_e32 v83, 0
	v_lshrrev_b32_e32 v1, 16, v1
	v_lshl_add_u32 v82, s6, 1, v1
	s_waitcnt lgkmcnt(0)
	v_cmp_gt_u64_e32 vcc_lo, s[0:1], v[82:83]
	s_and_saveexec_b32 s0, vcc_lo
	s_cbranch_execz .LBB0_23
; %bb.1:
	v_mul_lo_u16 v2, 0x66, v1
	s_clause 0x1
	s_load_dwordx2 s[12:13], s[4:5], 0x0
	s_load_dwordx2 s[14:15], s[4:5], 0x38
	v_and_b32_e32 v1, 1, v1
	v_sub_nc_u16 v0, v0, v2
	v_cmp_eq_u32_e32 vcc_lo, 1, v1
	v_and_b32_e32 v102, 0xffff, v0
	v_cndmask_b32_e64 v60, 0, 0x52e, vcc_lo
	v_cmp_gt_u16_e32 vcc_lo, 0x4e, v0
	v_lshlrev_b32_e32 v101, 3, v102
	v_lshlrev_b32_e32 v103, 3, v60
	s_and_saveexec_b32 s1, vcc_lo
	s_cbranch_execz .LBB0_3
; %bb.2:
	s_load_dwordx2 s[6:7], s[4:5], 0x18
	s_waitcnt lgkmcnt(0)
	v_add_co_u32 v21, s0, s12, v101
	v_add_co_ci_u32_e64 v22, null, s13, 0, s0
	v_add_nc_u32_e32 v71, v103, v101
	v_add_co_u32 v12, s0, 0x800, v21
	v_add_co_ci_u32_e64 v13, s0, 0, v22, s0
	v_add_co_u32 v14, s0, 0x1000, v21
	v_add_co_ci_u32_e64 v15, s0, 0, v22, s0
	v_lshl_add_u32 v72, v102, 3, v103
	v_add_nc_u32_e32 v73, 0x400, v71
	v_add_nc_u32_e32 v74, 0x800, v71
	;; [unrolled: 1-line block ×5, first 2 shown]
	s_load_dwordx4 s[8:11], s[6:7], 0x0
	s_clause 0x3
	global_load_dwordx2 v[2:3], v101, s[12:13]
	global_load_dwordx2 v[4:5], v101, s[12:13] offset:624
	global_load_dwordx2 v[6:7], v101, s[12:13] offset:1248
	;; [unrolled: 1-line block ×3, first 2 shown]
	v_add_nc_u32_e32 v78, 0x1c00, v71
	s_waitcnt lgkmcnt(0)
	v_mad_u64_u32 v[0:1], null, s10, v82, 0
	v_mad_u64_u32 v[10:11], null, s8, v102, 0
	s_mul_i32 s6, s9, 0x270
	s_mul_hi_u32 s7, s8, 0x270
	s_add_i32 s7, s7, s6
	v_mad_u64_u32 v[19:20], null, s9, v102, v[11:12]
	v_mov_b32_e32 v11, v19
	v_lshlrev_b64 v[10:11], 3, v[10:11]
	s_waitcnt vmcnt(3)
	v_mad_u64_u32 v[16:17], null, s11, v82, v[1:2]
	v_add_co_u32 v17, s0, 0x1800, v21
	v_add_co_ci_u32_e64 v18, s0, 0, v22, s0
	v_add_co_u32 v20, s0, 0x2000, v21
	v_mov_b32_e32 v1, v16
	v_add_co_ci_u32_e64 v21, s0, 0, v22, s0
	s_clause 0x5
	global_load_dwordx2 v[22:23], v[12:13], off offset:448
	global_load_dwordx2 v[24:25], v[12:13], off offset:1072
	;; [unrolled: 1-line block ×6, first 2 shown]
	v_lshlrev_b64 v[0:1], 3, v[0:1]
	s_clause 0x4
	global_load_dwordx2 v[30:31], v[17:18], off offset:96
	global_load_dwordx2 v[32:33], v[17:18], off offset:720
	;; [unrolled: 1-line block ×5, first 2 shown]
	v_add_co_u32 v0, s0, s2, v0
	v_add_co_ci_u32_e64 v1, s0, s3, v1, s0
	s_mul_i32 s2, s8, 0x270
	v_add_co_u32 v0, s0, v0, v10
	v_add_co_ci_u32_e64 v1, s0, v1, v11, s0
	v_add_co_u32 v10, s0, v0, s2
	v_add_co_ci_u32_e64 v11, s0, s7, v1, s0
	global_load_dwordx2 v[0:1], v[0:1], off
	v_add_co_u32 v18, s0, v10, s2
	v_add_co_ci_u32_e64 v19, s0, s7, v11, s0
	v_add_co_u32 v38, s0, v18, s2
	v_add_co_ci_u32_e64 v39, s0, s7, v19, s0
	v_add_co_u32 v40, s0, v38, s2
	v_add_co_ci_u32_e64 v41, s0, s7, v39, s0
	s_clause 0x2
	global_load_dwordx2 v[10:11], v[10:11], off
	global_load_dwordx2 v[18:19], v[18:19], off
	;; [unrolled: 1-line block ×3, first 2 shown]
	v_add_co_u32 v42, s0, v40, s2
	v_add_co_ci_u32_e64 v43, s0, s7, v41, s0
	global_load_dwordx2 v[40:41], v[40:41], off
	v_add_co_u32 v44, s0, v42, s2
	v_add_co_ci_u32_e64 v45, s0, s7, v43, s0
	global_load_dwordx2 v[42:43], v[42:43], off
	;; [unrolled: 3-line block ×12, first 2 shown]
	s_clause 0x1
	global_load_dwordx2 v[67:68], v[20:21], off offset:1168
	global_load_dwordx2 v[20:21], v[20:21], off offset:1792
	global_load_dwordx2 v[65:66], v[65:66], off
	s_waitcnt vmcnt(18)
	v_mul_f32_e32 v70, v0, v3
	v_mul_f32_e32 v69, v1, v3
	v_fma_f32 v70, v1, v2, -v70
	v_fmac_f32_e32 v69, v0, v2
	ds_write_b64 v72, v[69:70]
	s_waitcnt vmcnt(17)
	v_mul_f32_e32 v1, v10, v5
	v_mul_f32_e32 v0, v11, v5
	s_waitcnt vmcnt(16)
	v_mul_f32_e32 v2, v19, v7
	v_mul_f32_e32 v3, v18, v7
	s_waitcnt vmcnt(15)
	v_mul_f32_e32 v5, v38, v9
	v_fma_f32 v1, v11, v4, -v1
	v_fmac_f32_e32 v0, v10, v4
	v_fmac_f32_e32 v2, v18, v6
	v_mul_f32_e32 v4, v39, v9
	s_waitcnt vmcnt(14)
	v_mul_f32_e32 v7, v41, v23
	v_fma_f32 v3, v19, v6, -v3
	v_mul_f32_e32 v6, v40, v23
	s_waitcnt vmcnt(13)
	v_mul_f32_e32 v9, v43, v25
	v_mul_f32_e32 v10, v42, v25
	v_fma_f32 v5, v39, v8, -v5
	v_fmac_f32_e32 v4, v38, v8
	v_fmac_f32_e32 v7, v40, v22
	s_waitcnt vmcnt(12)
	v_mul_f32_e32 v11, v45, v13
	v_mul_f32_e32 v13, v44, v13
	v_fma_f32 v8, v41, v22, -v6
	v_fmac_f32_e32 v9, v42, v24
	v_fma_f32 v10, v43, v24, -v10
	v_fmac_f32_e32 v11, v44, v12
	v_fma_f32 v12, v45, v12, -v13
	ds_write2_b64 v71, v[0:1], v[2:3] offset0:78 offset1:156
	ds_write2_b64 v73, v[4:5], v[7:8] offset0:106 offset1:184
	s_waitcnt vmcnt(11)
	v_mul_f32_e32 v0, v47, v27
	v_mul_f32_e32 v1, v46, v27
	s_waitcnt vmcnt(10)
	v_mul_f32_e32 v2, v49, v29
	ds_write2_b64 v74, v[9:10], v[11:12] offset0:134 offset1:212
	v_mul_f32_e32 v3, v48, v29
	v_fmac_f32_e32 v0, v46, v26
	v_fma_f32 v1, v47, v26, -v1
	s_waitcnt vmcnt(9)
	v_mul_f32_e32 v4, v51, v15
	v_mul_f32_e32 v5, v50, v15
	v_fmac_f32_e32 v2, v48, v28
	v_fma_f32 v3, v49, v28, -v3
	s_waitcnt vmcnt(8)
	v_mul_f32_e32 v6, v53, v31
	;; [unrolled: 5-line block ×7, first 2 shown]
	v_mul_f32_e32 v17, v63, v68
	s_waitcnt vmcnt(0)
	v_mul_f32_e32 v18, v66, v21
	v_mul_f32_e32 v19, v65, v21
	v_fmac_f32_e32 v14, v61, v36
	v_fma_f32 v15, v62, v36, -v15
	v_fmac_f32_e32 v16, v63, v67
	v_fma_f32 v17, v64, v67, -v17
	;; [unrolled: 2-line block ×3, first 2 shown]
	v_add_nc_u32_e32 v20, 0x2000, v71
	ds_write2_b64 v75, v[0:1], v[2:3] offset0:34 offset1:112
	ds_write2_b64 v76, v[4:5], v[6:7] offset0:62 offset1:140
	;; [unrolled: 1-line block ×5, first 2 shown]
.LBB0_3:
	s_or_b32 exec_lo, exec_lo, s1
	v_mov_b32_e32 v0, 0
	v_mov_b32_e32 v1, 0
                                        ; kill: def $vgpr2 killed $sgpr0 killed $exec
	s_waitcnt lgkmcnt(0)
	s_barrier
	buffer_gl0_inv
                                        ; implicit-def: $vgpr18
                                        ; implicit-def: $vgpr12
                                        ; implicit-def: $vgpr8
                                        ; implicit-def: $vgpr4
                                        ; implicit-def: $vgpr26
                                        ; implicit-def: $vgpr38
                                        ; implicit-def: $vgpr42
                                        ; implicit-def: $vgpr22
	s_and_saveexec_b32 s0, vcc_lo
	s_cbranch_execz .LBB0_5
; %bb.4:
	v_lshl_add_u32 v24, v60, 3, v101
	ds_read2_b64 v[0:3], v24 offset1:78
	ds_read2_b64 v[20:23], v24 offset0:156 offset1:234
	v_add_nc_u32_e32 v4, 0x800, v24
	v_add_nc_u32_e32 v5, 0xc00, v24
	;; [unrolled: 1-line block ×5, first 2 shown]
	ds_read2_b64 v[40:43], v4 offset0:56 offset1:134
	ds_read2_b64 v[36:39], v5 offset0:84 offset1:162
	;; [unrolled: 1-line block ×6, first 2 shown]
	ds_read_b64 v[26:27], v24 offset:9984
.LBB0_5:
	s_or_b32 exec_lo, exec_lo, s0
	s_waitcnt lgkmcnt(0)
	v_sub_f32_e32 v46, v3, v27
	v_add_f32_e32 v52, v26, v2
	v_sub_f32_e32 v44, v2, v26
	v_sub_f32_e32 v48, v21, v7
	v_add_f32_e32 v53, v27, v3
	v_mul_f32_e32 v68, 0xbeb8f4ab, v46
	v_add_f32_e32 v54, v6, v20
	v_sub_f32_e32 v47, v20, v6
	v_mul_f32_e32 v73, 0xbeb8f4ab, v44
	v_mul_f32_e32 v67, 0xbf2c7751, v48
	v_fmamk_f32 v24, v52, 0x3f6eb680, v68
	v_sub_f32_e32 v49, v23, v5
	v_add_f32_e32 v55, v7, v21
	v_mul_f32_e32 v71, 0xbf2c7751, v47
	v_fma_f32 v25, 0x3f6eb680, v53, -v73
	v_fmamk_f32 v28, v54, 0x3f3d2fb0, v67
	v_add_f32_e32 v24, v24, v0
	v_add_f32_e32 v56, v4, v22
	v_mul_f32_e32 v72, 0xbf65296c, v49
	v_sub_f32_e32 v50, v22, v4
	v_fma_f32 v29, 0x3f3d2fb0, v55, -v71
	v_add_f32_e32 v25, v25, v1
	v_add_f32_e32 v24, v28, v24
	;; [unrolled: 1-line block ×3, first 2 shown]
	v_sub_f32_e32 v51, v41, v11
	v_fmamk_f32 v28, v56, 0x3ee437d1, v72
	v_mul_f32_e32 v75, 0xbf65296c, v50
	v_sub_f32_e32 v108, v40, v10
	v_add_f32_e32 v25, v29, v25
	v_add_f32_e32 v58, v10, v40
	v_mul_f32_e32 v74, 0xbf7ee86f, v51
	v_add_f32_e32 v24, v28, v24
	v_fma_f32 v28, 0x3ee437d1, v57, -v75
	v_add_f32_e32 v59, v11, v41
	v_mul_f32_e32 v76, 0xbf7ee86f, v108
	v_sub_f32_e32 v114, v43, v9
	v_fmamk_f32 v29, v58, 0x3dbcf732, v74
	v_add_f32_e32 v25, v28, v25
	v_add_f32_e32 v61, v8, v42
	v_fma_f32 v28, 0x3dbcf732, v59, -v76
	v_mul_f32_e32 v77, 0xbf763a35, v114
	v_sub_f32_e32 v115, v42, v8
	v_add_f32_e32 v24, v29, v24
	v_sub_f32_e32 v116, v37, v15
	v_add_f32_e32 v25, v28, v25
	v_add_f32_e32 v63, v9, v43
	v_fmamk_f32 v28, v61, 0xbe8c1d8e, v77
	v_mul_f32_e32 v79, 0xbf763a35, v115
	v_sub_f32_e32 v117, v36, v14
	v_add_f32_e32 v62, v14, v36
	v_mul_f32_e32 v78, 0xbf4c4adb, v116
	v_add_f32_e32 v24, v28, v24
	v_fma_f32 v28, 0xbe8c1d8e, v63, -v79
	v_sub_f32_e32 v120, v39, v13
	v_add_f32_e32 v65, v15, v37
	v_mul_f32_e32 v81, 0xbf4c4adb, v117
	v_sub_f32_e32 v129, v38, v12
	v_fmamk_f32 v29, v62, 0xbf1a4643, v78
	v_add_f32_e32 v64, v12, v38
	v_mul_f32_e32 v80, 0xbf06c442, v120
	v_add_f32_e32 v25, v28, v25
	v_fma_f32 v28, 0xbf1a4643, v65, -v81
	v_add_f32_e32 v66, v13, v39
	v_mul_f32_e32 v83, 0xbf06c442, v129
	v_sub_f32_e32 v126, v17, v19
	v_add_f32_e32 v24, v29, v24
	v_fmamk_f32 v29, v64, 0xbf59a7d5, v80
	v_add_f32_e32 v25, v28, v25
	v_fma_f32 v28, 0xbf59a7d5, v66, -v83
	v_add_f32_e32 v69, v18, v16
	v_mul_f32_e32 v84, 0xbe3c28d5, v126
	v_mul_f32_e32 v86, 0xbf2c7751, v46
	v_add_f32_e32 v24, v29, v24
	v_add_f32_e32 v25, v28, v25
	v_mul_f32_e32 v98, 0xbf2c7751, v44
	v_fmamk_f32 v28, v69, 0xbf7ba420, v84
	v_fmamk_f32 v30, v52, 0x3f3d2fb0, v86
	v_mul_f32_e32 v87, 0xbf7ee86f, v48
	v_mul_f32_e32 v91, 0xbf7ee86f, v47
	;; [unrolled: 1-line block ×3, first 2 shown]
	v_add_f32_e32 v24, v28, v24
	v_fma_f32 v28, 0x3f3d2fb0, v53, -v98
	v_add_f32_e32 v30, v30, v0
	v_fmamk_f32 v31, v54, 0x3dbcf732, v87
	v_sub_f32_e32 v130, v16, v18
	v_fma_f32 v32, 0x3dbcf732, v55, -v91
	v_add_f32_e32 v28, v28, v1
	v_mul_f32_e32 v93, 0xbf4c4adb, v50
	v_add_f32_e32 v30, v31, v30
	v_fmamk_f32 v31, v56, 0xbf1a4643, v88
	v_mul_f32_e32 v89, 0xbe3c28d5, v51
	v_add_f32_e32 v70, v19, v17
	v_mul_f32_e32 v85, 0xbe3c28d5, v130
	v_add_f32_e32 v28, v32, v28
	v_fma_f32 v32, 0xbf1a4643, v57, -v93
	v_mul_f32_e32 v95, 0xbe3c28d5, v108
	v_add_f32_e32 v30, v31, v30
	v_fmamk_f32 v31, v58, 0xbf7ba420, v89
	v_mul_f32_e32 v92, 0x3f06c442, v114
	v_fma_f32 v29, 0xbf7ba420, v70, -v85
	v_add_f32_e32 v28, v32, v28
	v_fma_f32 v32, 0xbf7ba420, v59, -v95
	v_mul_f32_e32 v96, 0x3f06c442, v115
	v_add_f32_e32 v30, v31, v30
	v_fmamk_f32 v31, v61, 0xbf59a7d5, v92
	v_mul_f32_e32 v94, 0x3f763a35, v116
	v_add_f32_e32 v28, v32, v28
	v_fma_f32 v32, 0xbf59a7d5, v63, -v96
	v_add_f32_e32 v25, v29, v25
	v_add_f32_e32 v29, v31, v30
	v_fmamk_f32 v30, v62, 0xbe8c1d8e, v94
	v_mul_f32_e32 v99, 0x3f763a35, v117
	v_mul_f32_e32 v97, 0x3f65296c, v120
	v_mul_f32_e32 v110, 0xbf65296c, v46
	v_add_f32_e32 v28, v32, v28
	v_add_f32_e32 v29, v30, v29
	v_fma_f32 v30, 0xbe8c1d8e, v65, -v99
	v_mul_f32_e32 v100, 0x3f65296c, v129
	v_fmamk_f32 v31, v64, 0x3ee437d1, v97
	v_fmamk_f32 v32, v52, 0x3ee437d1, v110
	v_mul_f32_e32 v112, 0xbf4c4adb, v48
	v_add_f32_e32 v28, v30, v28
	v_fma_f32 v30, 0x3ee437d1, v66, -v100
	v_add_f32_e32 v29, v31, v29
	v_add_f32_e32 v31, v32, v0
	v_fmamk_f32 v32, v54, 0xbf1a4643, v112
	v_mul_f32_e32 v111, 0x3e3c28d5, v49
	v_mul_f32_e32 v90, 0x3eb8f4ab, v126
	v_add_f32_e32 v28, v30, v28
	v_mul_f32_e32 v109, 0x3f763a35, v51
	v_add_f32_e32 v30, v32, v31
	v_fmamk_f32 v31, v56, 0xbf7ba420, v111
	v_fmamk_f32 v32, v69, 0x3f6eb680, v90
	v_mul_f32_e32 v123, 0xbf65296c, v44
	v_fmamk_f32 v34, v58, 0xbe8c1d8e, v109
	v_mul_f32_e32 v113, 0x3f2c7751, v114
	v_add_f32_e32 v31, v31, v30
	v_add_f32_e32 v30, v32, v29
	v_fma_f32 v29, 0x3ee437d1, v53, -v123
	v_mul_f32_e32 v125, 0xbf4c4adb, v47
	v_fmamk_f32 v32, v61, 0x3f3d2fb0, v113
	v_add_f32_e32 v31, v34, v31
	v_mul_f32_e32 v105, 0xbeb8f4ab, v116
	v_add_f32_e32 v29, v29, v1
	v_fma_f32 v34, 0xbf1a4643, v55, -v125
	v_mul_f32_e32 v124, 0x3e3c28d5, v50
	v_mul_f32_e32 v104, 0x3eb8f4ab, v130
	v_add_f32_e32 v31, v32, v31
	v_fmamk_f32 v32, v62, 0x3f6eb680, v105
	v_mul_f32_e32 v106, 0xbf7ee86f, v120
	v_add_f32_e32 v29, v34, v29
	v_fma_f32 v34, 0xbf7ba420, v57, -v124
	v_mul_f32_e32 v122, 0x3f763a35, v108
	v_fma_f32 v33, 0x3f6eb680, v70, -v104
	v_add_f32_e32 v32, v32, v31
	v_fmamk_f32 v35, v64, 0x3dbcf732, v106
	v_mul_f32_e32 v107, 0xbf06c442, v126
	v_add_f32_e32 v29, v34, v29
	v_fma_f32 v34, 0xbe8c1d8e, v59, -v122
	v_mul_f32_e32 v119, 0x3f2c7751, v115
	v_add_f32_e32 v31, v33, v28
	v_add_f32_e32 v28, v35, v32
	v_fmamk_f32 v32, v69, 0xbf59a7d5, v107
	v_add_f32_e32 v29, v34, v29
	v_fma_f32 v33, 0x3f3d2fb0, v63, -v119
	v_mul_f32_e32 v118, 0xbeb8f4ab, v117
	v_mul_f32_e32 v160, 0xbf7ee86f, v46
	;; [unrolled: 1-line block ×3, first 2 shown]
	v_add_f32_e32 v28, v32, v28
	v_add_f32_e32 v29, v33, v29
	v_fma_f32 v32, 0x3f6eb680, v65, -v118
	v_fmamk_f32 v33, v52, 0x3dbcf732, v160
	v_mul_f32_e32 v164, 0xbe3c28d5, v48
	v_fma_f32 v34, 0x3dbcf732, v53, -v181
	v_mul_f32_e32 v183, 0xbe3c28d5, v47
	v_add_f32_e32 v29, v32, v29
	v_add_f32_e32 v32, v33, v0
	v_fmamk_f32 v33, v54, 0xbf7ba420, v164
	v_add_f32_e32 v34, v34, v1
	v_fma_f32 v35, 0xbf7ba420, v55, -v183
	v_mul_f32_e32 v165, 0x3f763a35, v49
	v_mul_f32_e32 v184, 0x3f763a35, v50
	v_add_f32_e32 v32, v33, v32
	v_mul_f32_e32 v167, 0x3eb8f4ab, v51
	v_add_f32_e32 v33, v35, v34
	v_fmamk_f32 v34, v56, 0xbe8c1d8e, v165
	v_fma_f32 v35, 0xbe8c1d8e, v57, -v184
	v_mul_f32_e32 v178, 0x3eb8f4ab, v108
	v_mul_f32_e32 v169, 0xbf65296c, v114
	v_mul_f32_e32 v179, 0xbf65296c, v115
	v_add_f32_e32 v32, v34, v32
	v_add_f32_e32 v33, v35, v33
	v_fmamk_f32 v34, v58, 0x3f6eb680, v167
	v_fma_f32 v35, 0x3f6eb680, v59, -v178
	v_mul_f32_e32 v163, 0xbf06c442, v116
	v_mul_f32_e32 v180, 0xbf06c442, v117
	v_mul_f32_e32 v166, 0x3f4c4adb, v120
	v_add_f32_e32 v32, v34, v32
	;; [unrolled: 7-line block ×3, first 2 shown]
	v_fmamk_f32 v34, v62, 0xbf59a7d5, v163
	v_add_f32_e32 v33, v35, v33
	v_fma_f32 v35, 0xbf59a7d5, v65, -v180
	v_fmamk_f32 v121, v52, 0xbe8c1d8e, v187
	v_mul_f32_e32 v201, 0xbf763a35, v44
	v_add_f32_e32 v32, v34, v32
	v_fmamk_f32 v34, v64, 0xbf1a4643, v166
	v_add_f32_e32 v33, v35, v33
	v_fma_f32 v35, 0xbf1a4643, v66, -v182
	v_mul_f32_e32 v194, 0x3f2c7751, v49
	v_mul_f32_e32 v202, 0x3f06c442, v47
	v_add_f32_e32 v32, v34, v32
	v_add_f32_e32 v34, v121, v0
	;; [unrolled: 1-line block ×3, first 2 shown]
	v_fmamk_f32 v35, v54, 0xbf59a7d5, v188
	v_fma_f32 v121, 0xbe8c1d8e, v53, -v201
	v_mul_f32_e32 v193, 0xbf65296c, v51
	v_fma_f32 v128, 0xbf59a7d5, v55, -v202
	v_mul_f32_e32 v200, 0x3f2c7751, v50
	v_add_f32_e32 v34, v35, v34
	v_fmamk_f32 v35, v56, 0x3f3d2fb0, v194
	v_add_f32_e32 v121, v121, v1
	v_mul_f32_e32 v191, 0xbe3c28d5, v114
	v_mul_f32_e32 v199, 0xbf65296c, v108
	;; [unrolled: 1-line block ×3, first 2 shown]
	v_add_f32_e32 v34, v35, v34
	v_fmamk_f32 v35, v58, 0x3ee437d1, v193
	v_add_f32_e32 v121, v128, v121
	v_fma_f32 v128, 0x3f3d2fb0, v57, -v200
	v_mul_f32_e32 v198, 0xbe3c28d5, v115
	v_mul_f32_e32 v197, 0x3f7ee86f, v117
	v_add_f32_e32 v34, v35, v34
	v_fmamk_f32 v35, v61, 0xbf7ba420, v191
	v_add_f32_e32 v121, v128, v121
	v_fma_f32 v128, 0x3ee437d1, v59, -v199
	v_mul_f32_e32 v127, 0xbf7ee86f, v129
	v_mul_f32_e32 v189, 0xbeb8f4ab, v120
	v_add_f32_e32 v34, v35, v34
	v_fmamk_f32 v35, v62, 0x3dbcf732, v190
	v_add_f32_e32 v121, v128, v121
	v_fma_f32 v128, 0xbf7ba420, v63, -v198
	v_mul_f32_e32 v196, 0xbeb8f4ab, v129
	s_clause 0x1
	s_load_dwordx2 s[6:7], s[4:5], 0x20
	s_load_dwordx2 s[2:3], s[4:5], 0x8
	v_add_f32_e32 v34, v35, v34
	v_fma_f32 v45, 0x3dbcf732, v66, -v127
	v_add_f32_e32 v35, v128, v121
	v_fma_f32 v121, 0x3dbcf732, v65, -v197
	v_mul_f32_e32 v136, 0xbf06c442, v130
	v_mul_f32_e32 v185, 0x3f2c7751, v126
	;; [unrolled: 1-line block ×3, first 2 shown]
	v_fmamk_f32 v128, v64, 0x3f6eb680, v189
	v_mul_f32_e32 v192, 0xbf4c4adb, v126
	v_add_f32_e32 v35, v121, v35
	v_fma_f32 v121, 0x3f6eb680, v66, -v196
	v_mul_f32_e32 v195, 0xbf4c4adb, v130
	v_add_f32_e32 v29, v45, v29
	v_fma_f32 v45, 0xbf59a7d5, v70, -v136
	v_fmamk_f32 v131, v69, 0x3f3d2fb0, v185
	v_fma_f32 v132, 0x3f3d2fb0, v70, -v186
	v_add_f32_e32 v128, v128, v34
	v_fmamk_f32 v133, v69, 0xbf1a4643, v192
	v_add_f32_e32 v121, v121, v35
	v_fma_f32 v134, 0xbf1a4643, v70, -v195
	v_add_f32_e32 v29, v45, v29
	v_add_f32_e32 v34, v131, v32
	;; [unrolled: 1-line block ×5, first 2 shown]
	s_waitcnt lgkmcnt(0)
	s_barrier
	buffer_gl0_inv
	s_and_saveexec_b32 s0, vcc_lo
	s_cbranch_execz .LBB0_7
; %bb.6:
	v_mul_f32_e32 v152, 0xbe3c28d5, v44
	v_mul_f32_e32 v148, 0x3eb8f4ab, v47
	;; [unrolled: 1-line block ×5, first 2 shown]
	v_fmamk_f32 v45, v53, 0xbf7ba420, v152
	v_fmamk_f32 v133, v55, 0x3f6eb680, v148
	v_mul_f32_e32 v147, 0x3eb8f4ab, v48
	v_fmamk_f32 v134, v57, 0xbf59a7d5, v139
	v_fma_f32 v138, 0xbf7ba420, v52, -v151
	v_add_f32_e32 v45, v45, v1
	v_mul_f32_e32 v132, 0xbf4c4adb, v115
	v_mul_f32_e32 v146, 0xbf06c442, v49
	v_fmamk_f32 v140, v59, 0x3f3d2fb0, v137
	v_fma_f32 v141, 0x3f6eb680, v54, -v147
	v_add_f32_e32 v45, v133, v45
	v_add_f32_e32 v138, v138, v0
	v_mul_f32_e32 v131, 0x3f65296c, v117
	v_mul_f32_e32 v135, 0x3f2c7751, v51
	v_fmamk_f32 v142, v63, 0xbf1a4643, v132
	v_add_f32_e32 v45, v134, v45
	v_add_f32_e32 v138, v141, v138
	v_mul_f32_e32 v128, 0xbf763a35, v129
	v_mul_f32_e32 v133, 0xbf4c4adb, v114
	;; [unrolled: 1-line block ×3, first 2 shown]
	v_add_f32_e32 v45, v140, v45
	v_fma_f32 v140, 0xbf59a7d5, v56, -v146
	v_fmamk_f32 v141, v65, 0x3ee437d1, v131
	v_fma_f32 v143, 0x3f3d2fb0, v58, -v135
	v_mul_f32_e32 v134, 0x3f65296c, v116
	v_add_f32_e32 v45, v142, v45
	v_add_f32_e32 v138, v140, v138
	v_fmamk_f32 v142, v66, 0xbe8c1d8e, v128
	v_fmamk_f32 v140, v53, 0xbf59a7d5, v149
	v_mul_f32_e32 v153, 0x3f65296c, v47
	v_add_f32_e32 v45, v141, v45
	v_fma_f32 v141, 0xbf1a4643, v61, -v133
	v_add_f32_e32 v138, v143, v138
	v_add_f32_e32 v140, v140, v1
	v_mul_f32_e32 v155, 0xbf7ee86f, v50
	v_add_f32_e32 v45, v142, v45
	v_fmamk_f32 v142, v55, 0x3ee437d1, v153
	v_add_f32_e32 v138, v141, v138
	v_fma_f32 v141, 0x3ee437d1, v62, -v134
	v_mul_f32_e32 v157, 0xbf06c442, v46
	v_mul_f32_e32 v158, 0x3f65296c, v48
	v_add_f32_e32 v140, v142, v140
	v_fmamk_f32 v142, v57, 0x3dbcf732, v155
	v_add_f32_e32 v138, v141, v138
	v_fma_f32 v141, 0xbf59a7d5, v52, -v157
	v_mul_f32_e32 v144, 0xbf763a35, v120
	v_mul_f32_e32 v159, 0x3f4c4adb, v108
	v_add_f32_e32 v140, v142, v140
	v_fma_f32 v142, 0x3ee437d1, v54, -v158
	v_add_f32_e32 v141, v141, v0
	v_mul_f32_e32 v154, 0xbf7ee86f, v49
	v_mul_f32_e32 v121, 0x3f7ee86f, v130
	v_fma_f32 v143, 0xbe8c1d8e, v64, -v144
	v_fmamk_f32 v150, v59, 0xbf1a4643, v159
	v_mul_f32_e32 v161, 0xbeb8f4ab, v115
	v_add_f32_e32 v141, v142, v141
	v_fma_f32 v142, 0x3dbcf732, v56, -v154
	v_mul_f32_e32 v145, 0x3f4c4adb, v51
	v_fmamk_f32 v162, v70, 0x3dbcf732, v121
	v_add_f32_e32 v171, v143, v138
	v_add_f32_e32 v138, v150, v140
	;; [unrolled: 1-line block ×3, first 2 shown]
	v_fma_f32 v141, 0xbf1a4643, v58, -v145
	v_mul_f32_e32 v142, 0xbeb8f4ab, v114
	v_fmamk_f32 v143, v63, 0x3f6eb680, v161
	v_mul_f32_e32 v168, 0xbe3c28d5, v117
	v_add_f32_e32 v45, v162, v45
	v_add_f32_e32 v140, v141, v140
	v_fma_f32 v162, 0x3f6eb680, v61, -v142
	v_mul_f32_e32 v141, 0xbe3c28d5, v116
	v_add_f32_e32 v143, v143, v138
	v_fmamk_f32 v170, v65, 0xbf7ba420, v168
	v_mul_f32_e32 v150, 0x3f2c7751, v129
	v_mul_f32_e32 v156, 0x3f7ee86f, v126
	v_add_f32_e32 v140, v162, v140
	v_fma_f32 v162, 0xbf7ba420, v62, -v141
	v_mul_f32_e32 v138, 0x3f2c7751, v120
	v_add_f32_e32 v173, v170, v143
	v_fmamk_f32 v174, v66, 0x3f3d2fb0, v150
	v_mul_f32_e32 v143, 0xbf763a35, v130
	v_fma_f32 v172, 0x3dbcf732, v69, -v156
	v_add_f32_e32 v140, v162, v140
	v_fma_f32 v162, 0x3f3d2fb0, v64, -v138
	v_mul_f32_e32 v170, 0xbf4c4adb, v44
	v_add_f32_e32 v173, v174, v173
	v_fmamk_f32 v174, v70, 0xbe8c1d8e, v143
	v_add_f32_e32 v44, v172, v171
	v_add_f32_e32 v203, v162, v140
	v_fmamk_f32 v171, v53, 0xbf1a4643, v170
	v_mul_f32_e32 v162, 0x3f763a35, v47
	v_add_f32_e32 v47, v174, v173
	v_mul_f32_e32 v173, 0xbf4c4adb, v46
	v_mul_f32_e32 v174, 0x3f763a35, v48
	v_add_f32_e32 v46, v171, v1
	v_fmamk_f32 v172, v55, 0xbe8c1d8e, v162
	v_mul_f32_e32 v171, 0xbeb8f4ab, v50
	v_fma_f32 v175, 0xbf1a4643, v52, -v173
	v_fma_f32 v176, 0xbe8c1d8e, v54, -v174
	v_mul_f32_e32 v140, 0xbf763a35, v126
	v_add_f32_e32 v46, v172, v46
	v_fmamk_f32 v48, v57, 0x3f6eb680, v171
	v_mul_f32_e32 v172, 0xbf06c442, v108
	v_add_f32_e32 v108, v175, v0
	v_mul_f32_e32 v175, 0xbeb8f4ab, v49
	v_mul_f32_e32 v115, 0x3f7ee86f, v115
	v_add_f32_e32 v46, v48, v46
	v_fmamk_f32 v48, v59, 0xbf59a7d5, v172
	v_add_f32_e32 v49, v176, v108
	v_fma_f32 v108, 0x3f6eb680, v56, -v175
	v_mul_f32_e32 v176, 0xbf06c442, v51
	v_fma_f32 v50, 0xbe8c1d8e, v69, -v140
	v_add_f32_e32 v46, v48, v46
	v_fmamk_f32 v48, v63, 0x3dbcf732, v115
	v_mul_f32_e32 v117, 0xbf2c7751, v117
	v_add_f32_e32 v49, v108, v49
	v_fma_f32 v51, 0xbf59a7d5, v58, -v176
	v_mul_f32_e32 v177, 0x3f7ee86f, v114
	v_add_f32_e32 v48, v48, v46
	v_fmamk_f32 v114, v65, 0x3f3d2fb0, v117
	v_add_f32_e32 v46, v50, v203
	v_add_f32_e32 v49, v51, v49
	v_fma_f32 v50, 0x3dbcf732, v61, -v177
	v_mul_f32_e32 v108, 0xbf2c7751, v116
	v_mul_f32_e32 v51, 0xbe8c1d8e, v53
	v_add_f32_e32 v3, v3, v1
	v_add_f32_e32 v48, v114, v48
	v_mul_f32_e32 v114, 0xbe3c28d5, v129
	v_add_f32_e32 v49, v50, v49
	v_fma_f32 v50, 0x3f3d2fb0, v62, -v108
	v_mul_f32_e32 v116, 0xbe3c28d5, v120
	v_mul_f32_e32 v120, 0xbf59a7d5, v55
	v_add_f32_e32 v51, v201, v51
	v_add_f32_e32 v3, v21, v3
	v_fmamk_f32 v129, v66, 0xbf7ba420, v114
	v_add_f32_e32 v49, v50, v49
	v_fma_f32 v50, 0xbf7ba420, v64, -v116
	v_add_f32_e32 v201, v202, v120
	v_add_f32_e32 v51, v51, v1
	v_add_f32_e32 v3, v23, v3
	v_add_f32_e32 v2, v2, v0
	v_add_f32_e32 v48, v129, v48
	v_mul_f32_e32 v129, 0x3f3d2fb0, v57
	v_add_f32_e32 v50, v50, v49
	v_add_f32_e32 v49, v201, v51
	v_mul_f32_e32 v51, 0xbe8c1d8e, v52
	v_add_f32_e32 v3, v41, v3
	v_add_f32_e32 v2, v20, v2
	v_mul_f32_e32 v120, 0x3f65296c, v130
	v_add_f32_e32 v129, v200, v129
	v_mul_f32_e32 v130, 0x3ee437d1, v59
	v_mul_f32_e32 v200, 0xbf59a7d5, v54
	v_sub_f32_e32 v51, v51, v187
	v_add_f32_e32 v3, v43, v3
	v_add_f32_e32 v2, v22, v2
	;; [unrolled: 1-line block ×4, first 2 shown]
	v_mul_f32_e32 v130, 0xbf7ba420, v63
	v_sub_f32_e32 v187, v200, v188
	v_add_f32_e32 v51, v51, v0
	v_mul_f32_e32 v188, 0x3f3d2fb0, v56
	v_add_f32_e32 v3, v37, v3
	v_add_f32_e32 v2, v40, v2
	;; [unrolled: 1-line block ×4, first 2 shown]
	v_mul_f32_e32 v130, 0x3dbcf732, v65
	v_add_f32_e32 v51, v187, v51
	v_sub_f32_e32 v187, v188, v194
	v_mul_f32_e32 v188, 0x3ee437d1, v58
	v_add_f32_e32 v3, v39, v3
	v_add_f32_e32 v2, v42, v2
	v_mul_f32_e32 v126, 0x3f65296c, v126
	v_add_f32_e32 v49, v129, v49
	v_add_f32_e32 v129, v197, v130
	;; [unrolled: 1-line block ×3, first 2 shown]
	v_sub_f32_e32 v130, v188, v193
	v_mul_f32_e32 v187, 0xbf7ba420, v61
	v_add_f32_e32 v3, v17, v3
	v_add_f32_e32 v2, v36, v2
	v_fmamk_f32 v194, v70, 0x3ee437d1, v120
	v_fma_f32 v188, 0x3ee437d1, v69, -v126
	v_add_f32_e32 v51, v130, v51
	v_sub_f32_e32 v130, v187, v191
	v_mul_f32_e32 v187, 0x3dbcf732, v62
	v_add_f32_e32 v3, v19, v3
	v_add_f32_e32 v2, v38, v2
	;; [unrolled: 1-line block ×6, first 2 shown]
	v_sub_f32_e32 v51, v187, v190
	v_mul_f32_e32 v130, 0x3dbcf732, v53
	v_mul_f32_e32 v187, 0x3f6eb680, v64
	;; [unrolled: 1-line block ×3, first 2 shown]
	v_add_f32_e32 v13, v13, v3
	v_add_f32_e32 v2, v16, v2
	;; [unrolled: 1-line block ×3, first 2 shown]
	v_mul_f32_e32 v51, 0xbf7ba420, v55
	v_add_f32_e32 v130, v181, v130
	v_sub_f32_e32 v181, v187, v189
	v_add_f32_e32 v187, v195, v188
	v_mul_f32_e32 v188, 0xbf1a4643, v69
	v_add_f32_e32 v13, v15, v13
	v_add_f32_e32 v2, v18, v2
	;; [unrolled: 1-line block ×5, first 2 shown]
	v_mul_f32_e32 v181, 0xbe8c1d8e, v57
	v_sub_f32_e32 v183, v188, v192
	v_fma_f32 v15, 0xbf7ba420, v53, -v152
	v_add_f32_e32 v9, v9, v13
	v_add_f32_e32 v12, v12, v2
	;; [unrolled: 1-line block ×4, first 2 shown]
	v_mul_f32_e32 v184, 0x3dbcf732, v52
	v_add_f32_e32 v50, v183, v50
	v_mul_f32_e32 v183, 0x3f6eb680, v59
	v_add_f32_e32 v13, v15, v1
	v_fma_f32 v15, 0x3f6eb680, v55, -v148
	v_add_f32_e32 v9, v11, v9
	v_add_f32_e32 v11, v14, v12
	;; [unrolled: 1-line block ×3, first 2 shown]
	v_mul_f32_e32 v181, 0xbf7ba420, v54
	v_sub_f32_e32 v160, v184, v160
	v_add_f32_e32 v178, v178, v183
	v_mul_f32_e32 v183, 0x3ee437d1, v63
	v_fmac_f32_e32 v151, 0xbf7ba420, v52
	v_add_f32_e32 v12, v15, v13
	v_fma_f32 v13, 0xbf59a7d5, v57, -v139
	v_add_f32_e32 v5, v5, v9
	v_add_f32_e32 v8, v8, v11
	v_sub_f32_e32 v164, v181, v164
	v_add_f32_e32 v160, v160, v0
	v_add_f32_e32 v130, v178, v130
	v_mul_f32_e32 v178, 0xbe8c1d8e, v56
	v_add_f32_e32 v179, v179, v183
	v_add_f32_e32 v9, v151, v0
	v_fmac_f32_e32 v147, 0x3f6eb680, v54
	v_add_f32_e32 v11, v13, v12
	v_fma_f32 v12, 0x3f3d2fb0, v59, -v137
	v_add_f32_e32 v5, v7, v5
	v_add_f32_e32 v7, v10, v8
	;; [unrolled: 1-line block ×3, first 2 shown]
	v_mul_f32_e32 v164, 0xbf59a7d5, v65
	v_sub_f32_e32 v165, v178, v165
	v_add_f32_e32 v130, v179, v130
	v_mul_f32_e32 v179, 0x3f6eb680, v58
	v_add_f32_e32 v8, v147, v9
	v_fmac_f32_e32 v146, 0xbf59a7d5, v56
	v_add_f32_e32 v9, v12, v11
	v_fma_f32 v10, 0xbf1a4643, v63, -v132
	v_add_f32_e32 v4, v4, v7
	v_add_f32_e32 v164, v180, v164
	;; [unrolled: 1-line block ×3, first 2 shown]
	v_mul_f32_e32 v165, 0xbf1a4643, v66
	v_sub_f32_e32 v167, v179, v167
	v_add_f32_e32 v7, v146, v8
	v_fmac_f32_e32 v135, 0x3f3d2fb0, v58
	v_add_f32_e32 v8, v10, v9
	v_fma_f32 v9, 0x3ee437d1, v65, -v131
	v_add_f32_e32 v4, v6, v4
	v_fma_f32 v6, 0xbf59a7d5, v53, -v149
	v_mul_f32_e32 v183, 0x3ee437d1, v53
	v_add_f32_e32 v130, v164, v130
	v_mul_f32_e32 v164, 0x3ee437d1, v61
	v_add_f32_e32 v165, v182, v165
	v_add_f32_e32 v160, v167, v160
	v_mul_f32_e32 v167, 0x3f3d2fb0, v70
	v_add_f32_e32 v7, v135, v7
	v_fmac_f32_e32 v133, 0xbf1a4643, v61
	v_add_f32_e32 v8, v9, v8
	v_fma_f32 v9, 0xbe8c1d8e, v66, -v128
	v_add_f32_e32 v6, v6, v1
	v_fma_f32 v10, 0x3ee437d1, v55, -v153
	v_mul_f32_e32 v193, 0x3f6eb680, v66
	v_sub_f32_e32 v164, v164, v169
	v_add_f32_e32 v130, v165, v130
	v_mul_f32_e32 v165, 0xbf1a4643, v55
	v_add_f32_e32 v167, v186, v167
	v_mul_f32_e32 v186, 0xbf59a7d5, v62
	v_add_f32_e32 v123, v123, v183
	v_add_f32_e32 v7, v133, v7
	v_fmac_f32_e32 v134, 0x3ee437d1, v62
	v_add_f32_e32 v8, v9, v8
	v_add_f32_e32 v6, v10, v6
	v_fma_f32 v9, 0x3dbcf732, v57, -v155
	v_add_f32_e32 v191, v196, v193
	v_mul_f32_e32 v181, 0x3ee437d1, v52
	v_add_f32_e32 v160, v164, v160
	v_sub_f32_e32 v163, v186, v163
	v_mul_f32_e32 v186, 0xbf1a4643, v64
	v_add_f32_e32 v125, v125, v165
	v_add_f32_e32 v123, v123, v1
	v_mul_f32_e32 v189, 0x3f6eb680, v53
	v_add_f32_e32 v7, v134, v7
	v_fmac_f32_e32 v144, 0xbe8c1d8e, v64
	v_add_f32_e32 v6, v9, v6
	v_fma_f32 v9, 0xbf1a4643, v59, -v159
	v_add_f32_e32 v129, v191, v129
	v_mul_f32_e32 v169, 0xbf1a4643, v54
	v_add_f32_e32 v160, v163, v160
	v_mul_f32_e32 v163, 0xbf7ba420, v57
	v_sub_f32_e32 v166, v186, v166
	v_add_f32_e32 v123, v125, v123
	v_mul_f32_e32 v125, 0x3f3d2fb0, v69
	v_sub_f32_e32 v110, v181, v110
	v_mul_f32_e32 v188, 0x3f6eb680, v52
	v_mul_f32_e32 v184, 0x3f3d2fb0, v53
	;; [unrolled: 1-line block ×3, first 2 shown]
	v_add_f32_e32 v73, v73, v189
	v_fma_f32 v10, 0x3dbcf732, v70, -v121
	v_add_f32_e32 v11, v144, v7
	v_fmac_f32_e32 v156, 0x3dbcf732, v69
	v_add_f32_e32 v9, v9, v6
	v_fma_f32 v13, 0x3f6eb680, v63, -v161
	v_add_f32_e32 v51, v187, v129
	v_mul_f32_e32 v129, 0x3f3d2fb0, v52
	v_add_f32_e32 v124, v124, v163
	v_mul_f32_e32 v163, 0xbf7ba420, v56
	;; [unrolled: 2-line block ×3, first 2 shown]
	v_sub_f32_e32 v125, v125, v185
	v_sub_f32_e32 v112, v169, v112
	v_add_f32_e32 v110, v110, v0
	v_mul_f32_e32 v178, 0x3f3d2fb0, v54
	v_mul_f32_e32 v183, 0x3ee437d1, v57
	v_add_f32_e32 v98, v98, v184
	v_add_f32_e32 v73, v73, v1
	;; [unrolled: 1-line block ×3, first 2 shown]
	v_sub_f32_e32 v21, v188, v68
	v_add_f32_e32 v7, v10, v8
	v_add_f32_e32 v6, v156, v11
	;; [unrolled: 1-line block ×3, first 2 shown]
	v_fma_f32 v10, 0xbf7ba420, v65, -v168
	v_fma_f32 v11, 0xbf1a4643, v53, -v170
	v_mul_f32_e32 v179, 0x3dbcf732, v54
	v_mul_f32_e32 v182, 0x3dbcf732, v55
	v_add_f32_e32 v124, v124, v123
	v_add_f32_e32 v166, v122, v166
	;; [unrolled: 1-line block ×4, first 2 shown]
	v_mul_f32_e32 v130, 0x3f3d2fb0, v63
	v_mul_f32_e32 v160, 0xbe8c1d8e, v58
	v_add_f32_e32 v110, v112, v110
	v_sub_f32_e32 v111, v163, v111
	v_sub_f32_e32 v86, v129, v86
	v_mul_f32_e32 v164, 0x3ee437d1, v56
	v_mul_f32_e32 v187, 0x3dbcf732, v59
	v_add_f32_e32 v98, v98, v1
	v_add_f32_e32 v68, v71, v73
	;; [unrolled: 1-line block ×4, first 2 shown]
	v_sub_f32_e32 v67, v178, v67
	v_fmac_f32_e32 v157, 0xbf59a7d5, v52
	v_fmac_f32_e32 v173, 0xbf1a4643, v52
	v_add_f32_e32 v9, v10, v9
	v_add_f32_e32 v1, v11, v1
	v_fma_f32 v10, 0xbe8c1d8e, v55, -v162
	v_mul_f32_e32 v165, 0xbf1a4643, v56
	v_mul_f32_e32 v186, 0xbf1a4643, v57
	v_add_f32_e32 v124, v166, v124
	v_add_f32_e32 v119, v119, v130
	v_mul_f32_e32 v130, 0x3f6eb680, v65
	v_mul_f32_e32 v163, 0x3f3d2fb0, v61
	v_add_f32_e32 v110, v111, v110
	v_mul_f32_e32 v111, 0xbf59a7d5, v70
	v_sub_f32_e32 v109, v160, v109
	v_add_f32_e32 v91, v91, v182
	v_sub_f32_e32 v87, v179, v87
	v_add_f32_e32 v86, v86, v0
	v_mul_f32_e32 v185, 0x3dbcf732, v58
	v_mul_f32_e32 v167, 0xbe8c1d8e, v63
	;; [unrolled: 1-line block ×3, first 2 shown]
	v_add_f32_e32 v20, v23, v68
	v_add_f32_e32 v23, v76, v187
	;; [unrolled: 1-line block ×3, first 2 shown]
	v_sub_f32_e32 v22, v164, v72
	v_add_f32_e32 v12, v157, v0
	v_fmac_f32_e32 v158, 0x3ee437d1, v54
	v_add_f32_e32 v0, v173, v0
	v_fmac_f32_e32 v174, 0xbe8c1d8e, v54
	v_add_f32_e32 v1, v10, v1
	v_fma_f32 v10, 0x3f6eb680, v57, -v171
	v_mul_f32_e32 v190, 0xbf7ba420, v58
	v_mul_f32_e32 v125, 0xbf7ba420, v59
	v_add_f32_e32 v119, v119, v124
	v_add_f32_e32 v118, v118, v130
	;; [unrolled: 1-line block ×3, first 2 shown]
	v_mul_f32_e32 v136, 0x3f6eb680, v62
	v_add_f32_e32 v109, v109, v110
	v_sub_f32_e32 v113, v163, v113
	v_add_f32_e32 v91, v91, v98
	v_add_f32_e32 v93, v93, v186
	;; [unrolled: 1-line block ×3, first 2 shown]
	v_sub_f32_e32 v87, v165, v88
	v_mul_f32_e32 v166, 0xbe8c1d8e, v61
	v_add_f32_e32 v112, v127, v112
	v_mul_f32_e32 v127, 0xbf1a4643, v65
	v_add_f32_e32 v20, v23, v20
	v_add_f32_e32 v23, v79, v167
	;; [unrolled: 1-line block ×3, first 2 shown]
	v_sub_f32_e32 v22, v185, v74
	v_add_f32_e32 v8, v158, v12
	v_fmac_f32_e32 v154, 0x3dbcf732, v56
	v_add_f32_e32 v0, v174, v0
	v_fmac_f32_e32 v175, 0x3f6eb680, v56
	v_add_f32_e32 v1, v10, v1
	v_fma_f32 v10, 0xbf59a7d5, v59, -v172
	v_mul_f32_e32 v124, 0xbf59a7d5, v61
	v_mul_f32_e32 v130, 0xbf59a7d5, v63
	v_add_f32_e32 v118, v118, v119
	v_mul_f32_e32 v181, 0x3dbcf732, v64
	v_add_f32_e32 v91, v93, v91
	v_add_f32_e32 v93, v95, v125
	;; [unrolled: 1-line block ×3, first 2 shown]
	v_sub_f32_e32 v105, v136, v105
	v_add_f32_e32 v86, v87, v86
	v_sub_f32_e32 v87, v190, v89
	v_mul_f32_e32 v119, 0xbf1a4643, v62
	v_mul_f32_e32 v169, 0xbf59a7d5, v66
	v_add_f32_e32 v20, v23, v20
	v_add_f32_e32 v23, v81, v127
	;; [unrolled: 1-line block ×3, first 2 shown]
	v_sub_f32_e32 v22, v166, v77
	v_add_f32_e32 v8, v154, v8
	v_fmac_f32_e32 v145, 0xbf1a4643, v58
	v_add_f32_e32 v0, v175, v0
	v_fmac_f32_e32 v176, 0xbf59a7d5, v58
	v_add_f32_e32 v1, v10, v1
	v_fma_f32 v10, 0x3dbcf732, v63, -v115
	v_mul_f32_e32 v160, 0xbe8c1d8e, v62
	v_add_f32_e32 v112, v112, v118
	v_mul_f32_e32 v118, 0xbe8c1d8e, v65
	v_mul_f32_e32 v88, 0xbf59a7d5, v69
	v_add_f32_e32 v89, v93, v91
	v_add_f32_e32 v91, v96, v130
	;; [unrolled: 1-line block ×3, first 2 shown]
	v_sub_f32_e32 v95, v181, v106
	v_add_f32_e32 v86, v87, v86
	v_sub_f32_e32 v87, v124, v92
	v_mul_f32_e32 v110, 0xbf59a7d5, v64
	v_mul_f32_e32 v98, 0xbf7ba420, v70
	v_add_f32_e32 v17, v23, v20
	v_add_f32_e32 v20, v83, v169
	;; [unrolled: 1-line block ×3, first 2 shown]
	v_sub_f32_e32 v19, v119, v78
	v_add_f32_e32 v8, v145, v8
	v_fmac_f32_e32 v142, 0x3f6eb680, v61
	v_add_f32_e32 v0, v176, v0
	v_fmac_f32_e32 v177, 0x3dbcf732, v61
	v_add_f32_e32 v1, v10, v1
	v_fma_f32 v10, 0x3f3d2fb0, v65, -v117
	v_mul_f32_e32 v163, 0x3ee437d1, v64
	v_mul_f32_e32 v129, 0x3ee437d1, v66
	v_add_f32_e32 v89, v91, v89
	v_add_f32_e32 v91, v99, v118
	;; [unrolled: 1-line block ×3, first 2 shown]
	v_sub_f32_e32 v88, v88, v107
	v_add_f32_e32 v93, v87, v86
	v_sub_f32_e32 v94, v160, v94
	v_mul_f32_e32 v179, 0xbf7ba420, v69
	v_add_f32_e32 v17, v20, v17
	v_add_f32_e32 v20, v85, v98
	;; [unrolled: 1-line block ×3, first 2 shown]
	v_sub_f32_e32 v19, v110, v80
	v_add_f32_e32 v8, v142, v8
	v_fmac_f32_e32 v141, 0xbf7ba420, v62
	v_add_f32_e32 v0, v177, v0
	v_fmac_f32_e32 v108, 0x3f3d2fb0, v62
	v_add_f32_e32 v1, v10, v1
	v_mul_lo_u16 v10, v102, 17
	v_mul_f32_e32 v182, 0x3f6eb680, v69
	v_mul_f32_e32 v184, 0x3f6eb680, v70
	v_add_f32_e32 v89, v91, v89
	v_add_f32_e32 v91, v100, v129
	v_add_f32_e32 v86, v88, v92
	v_add_f32_e32 v88, v94, v93
	v_sub_f32_e32 v92, v163, v97
	v_add_f32_e32 v3, v20, v17
	v_add_f32_e32 v16, v19, v16
	v_sub_f32_e32 v17, v179, v84
	v_fma_f32 v11, 0x3f3d2fb0, v66, -v150
	v_add_f32_e32 v8, v141, v8
	v_fmac_f32_e32 v138, 0x3f3d2fb0, v64
	v_fma_f32 v12, 0xbf7ba420, v66, -v114
	v_add_f32_e32 v0, v108, v0
	v_fmac_f32_e32 v116, 0xbf7ba420, v64
	v_and_b32_e32 v10, 0xffff, v10
	v_add_f32_e32 v89, v91, v89
	v_add_f32_e32 v91, v104, v184
	v_add_f32_e32 v88, v92, v88
	v_sub_f32_e32 v90, v182, v90
	v_add_f32_e32 v2, v17, v16
	v_add_f32_e32 v5, v27, v5
	;; [unrolled: 1-line block ×4, first 2 shown]
	v_fma_f32 v11, 0xbe8c1d8e, v70, -v143
	v_add_f32_e32 v8, v138, v8
	v_fmac_f32_e32 v140, 0xbe8c1d8e, v69
	v_add_f32_e32 v12, v12, v1
	v_fma_f32 v13, 0x3ee437d1, v70, -v120
	v_add_f32_e32 v14, v116, v0
	v_fmac_f32_e32 v126, 0x3ee437d1, v69
	v_add_lshl_u32 v10, v60, v10, 3
	v_add_f32_e32 v87, v111, v112
	v_add_f32_e32 v89, v91, v89
	;; [unrolled: 1-line block ×7, first 2 shown]
	ds_write2_b64 v10, v[4:5], v[2:3] offset1:1
	ds_write2_b64 v10, v[88:89], v[86:87] offset0:2 offset1:3
	ds_write2_b64 v10, v[122:123], v[50:51] offset0:4 offset1:5
	;; [unrolled: 1-line block ×7, first 2 shown]
	ds_write_b64 v10, v[24:25] offset:128
.LBB0_7:
	s_or_b32 exec_lo, exec_lo, s0
	v_add_lshl_u32 v104, v60, v102, 3
	s_waitcnt lgkmcnt(0)
	s_barrier
	buffer_gl0_inv
	v_cmp_gt_u16_e64 s0, 17, v102
	v_add_nc_u32_e32 v0, 0x400, v104
	v_add_nc_u32_e32 v1, 0xc00, v104
	;; [unrolled: 1-line block ×5, first 2 shown]
	ds_read2_b64 v[36:39], v104 offset1:102
	ds_read2_b64 v[56:59], v0 offset0:93 offset1:195
	ds_read2_b64 v[52:55], v1 offset0:58 offset1:160
	;; [unrolled: 1-line block ×5, first 2 shown]
	s_and_saveexec_b32 s1, s0
	s_cbranch_execz .LBB0_9
; %bb.8:
	v_add_nc_u32_e32 v0, 0x600, v104
	v_add_nc_u32_e32 v1, 0x1400, v104
	;; [unrolled: 1-line block ×3, first 2 shown]
	ds_read2_b64 v[32:35], v0 offset0:12 offset1:233
	ds_read2_b64 v[28:31], v1 offset0:6 offset1:227
	ds_read2_b64 v[24:27], v2 offset1:221
.LBB0_9:
	s_or_b32 exec_lo, exec_lo, s1
	v_and_b32_e32 v0, 0xff, v102
	v_add_nc_u32_e32 v1, 0xcc, v102
	v_mov_b32_e32 v2, 0xf0f1
	v_add_nc_u16 v4, v102, 0x66
	v_mul_lo_u16 v0, 0xf1, v0
	v_lshrrev_b16 v63, 12, v0
	v_mul_u32_u24_sdwa v0, v1, v2 dst_sel:DWORD dst_unused:UNUSED_PAD src0_sel:WORD_0 src1_sel:DWORD
	v_mul_lo_u16 v2, v63, 17
	v_lshrrev_b32_e32 v0, 20, v0
	v_sub_nc_u16 v2, v102, v2
	v_mul_lo_u16 v0, v0, 17
	v_and_b32_e32 v64, 0xff, v2
	v_and_b32_e32 v2, 0xff, v4
	v_sub_nc_u16 v65, v1, v0
	v_mad_u64_u32 v[0:1], null, v64, 40, s[2:3]
	v_mul_lo_u16 v2, 0xf1, v2
	v_mul_lo_u16 v3, v65, 40
	v_and_b32_e32 v106, 0xffff, v65
	s_clause 0x1
	global_load_dwordx4 v[16:19], v[0:1], off offset:16
	global_load_dwordx4 v[20:23], v[0:1], off
	v_lshrrev_b16 v66, 12, v2
	v_and_b32_e32 v3, 0xffff, v3
	v_mul_lo_u16 v5, v66, 17
	v_add_co_u32 v8, s1, s2, v3
	v_add_co_ci_u32_e64 v9, null, s3, 0, s1
	v_sub_nc_u16 v10, v4, v5
	s_clause 0x3
	global_load_dwordx2 v[87:88], v[0:1], off offset:32
	global_load_dwordx4 v[0:3], v[8:9], off
	global_load_dwordx4 v[4:7], v[8:9], off offset:16
	global_load_dwordx2 v[83:84], v[8:9], off offset:32
	v_and_b32_e32 v67, 0xff, v10
	v_mad_u64_u32 v[61:62], null, v67, 40, s[2:3]
	s_clause 0x2
	global_load_dwordx4 v[12:15], v[61:62], off
	global_load_dwordx4 v[8:11], v[61:62], off offset:16
	global_load_dwordx2 v[85:86], v[61:62], off offset:32
	v_mov_b32_e32 v61, 0x66
	s_load_dwordx4 s[4:7], s[6:7], 0x0
	s_waitcnt vmcnt(0) lgkmcnt(0)
	s_barrier
	buffer_gl0_inv
	v_mul_u32_u24_sdwa v62, v63, v61 dst_sel:DWORD dst_unused:UNUSED_PAD src0_sel:WORD_0 src1_sel:DWORD
	v_mul_u32_u24_sdwa v61, v66, v61 dst_sel:DWORD dst_unused:UNUSED_PAD src0_sel:WORD_0 src1_sel:DWORD
	v_add_nc_u32_e32 v62, v62, v64
	v_add_nc_u32_e32 v61, v61, v67
	v_add_lshl_u32 v108, v60, v62, 3
	v_add_lshl_u32 v107, v60, v61, 3
	v_mul_f32_e32 v65, v49, v17
	v_mul_f32_e32 v61, v57, v21
	;; [unrolled: 1-line block ×8, first 2 shown]
	v_fma_f32 v56, v56, v20, -v61
	v_fmac_f32_e32 v62, v57, v20
	v_fma_f32 v52, v52, v22, -v63
	v_fmac_f32_e32 v64, v53, v22
	v_fma_f32 v48, v48, v16, -v65
	v_mul_f32_e32 v69, v41, v88
	v_mul_f32_e32 v70, v40, v88
	;; [unrolled: 1-line block ×10, first 2 shown]
	v_fmac_f32_e32 v66, v49, v16
	v_fma_f32 v44, v44, v18, -v67
	v_fmac_f32_e32 v68, v45, v18
	v_fma_f32 v40, v40, v87, -v69
	v_fmac_f32_e32 v70, v41, v87
	v_mul_f32_e32 v53, v58, v13
	v_mul_f32_e32 v45, v55, v15
	;; [unrolled: 1-line block ×11, first 2 shown]
	v_fmac_f32_e32 v74, v29, v2
	v_fma_f32 v29, v30, v4, -v75
	v_fmac_f32_e32 v76, v31, v4
	v_fmac_f32_e32 v78, v25, v6
	v_fma_f32 v26, v26, v83, -v79
	v_fmac_f32_e32 v80, v27, v83
	v_mul_f32_e32 v41, v59, v13
	v_fmac_f32_e32 v72, v35, v0
	v_fma_f32 v28, v28, v2, -v73
	v_fmac_f32_e32 v53, v59, v12
	v_fma_f32 v25, v54, v14, -v45
	v_fma_f32 v27, v50, v8, -v57
	v_fmac_f32_e32 v61, v51, v8
	v_fmac_f32_e32 v65, v47, v10
	v_fma_f32 v35, v42, v85, -v67
	v_fmac_f32_e32 v69, v43, v85
	v_add_f32_e32 v30, v36, v52
	v_add_f32_e32 v31, v52, v44
	;; [unrolled: 1-line block ×4, first 2 shown]
	v_sub_f32_e32 v45, v52, v44
	v_add_f32_e32 v47, v48, v40
	v_add_f32_e32 v51, v62, v66
	;; [unrolled: 1-line block ×3, first 2 shown]
	v_fma_f32 v71, v34, v0, -v71
	v_fma_f32 v24, v24, v6, -v77
	v_fmac_f32_e32 v49, v55, v14
	v_fma_f32 v34, v46, v10, -v63
	v_add_f32_e32 v46, v56, v48
	v_sub_f32_e32 v50, v66, v70
	v_sub_f32_e32 v57, v74, v78
	v_add_f32_e32 v59, v33, v74
	v_add_f32_e32 v63, v74, v78
	;; [unrolled: 1-line block ×4, first 2 shown]
	v_fma_f32 v58, v58, v12, -v41
	v_sub_f32_e32 v41, v64, v68
	v_add_f32_e32 v54, v32, v28
	v_sub_f32_e32 v67, v76, v80
	v_add_f32_e32 v73, v72, v76
	v_fma_f32 v76, -0.5, v31, v36
	v_add_f32_e32 v31, v42, v68
	v_fma_f32 v68, -0.5, v43, v37
	v_fmac_f32_e32 v56, -0.5, v47
	v_add_f32_e32 v37, v51, v70
	v_fmac_f32_e32 v62, -0.5, v52
	v_add_f32_e32 v51, v27, v35
	v_sub_f32_e32 v52, v61, v69
	v_add_f32_e32 v70, v53, v61
	v_add_f32_e32 v61, v61, v69
	v_sub_f32_e32 v48, v48, v40
	v_add_f32_e32 v55, v28, v24
	v_sub_f32_e32 v64, v28, v24
	;; [unrolled: 2-line block ×3, first 2 shown]
	v_add_f32_e32 v30, v30, v44
	v_add_f32_e32 v36, v46, v40
	;; [unrolled: 1-line block ×4, first 2 shown]
	v_fmac_f32_e32 v71, -0.5, v66
	v_fmac_f32_e32 v72, -0.5, v74
	v_sub_f32_e32 v43, v49, v65
	v_add_f32_e32 v49, v58, v27
	v_sub_f32_e32 v77, v27, v35
	v_add_f32_e32 v24, v54, v24
	v_fmamk_f32 v54, v41, 0x3f5db3d7, v76
	v_fmac_f32_e32 v76, 0xbf5db3d7, v41
	v_fmamk_f32 v41, v50, 0x3f5db3d7, v56
	v_fmac_f32_e32 v56, 0xbf5db3d7, v50
	v_fmac_f32_e32 v58, -0.5, v51
	v_fmac_f32_e32 v53, -0.5, v61
	v_add_f32_e32 v42, v25, v34
	v_fmac_f32_e32 v32, -0.5, v55
	v_fmamk_f32 v55, v45, 0xbf5db3d7, v68
	v_fmac_f32_e32 v68, 0x3f5db3d7, v45
	v_fmamk_f32 v45, v48, 0xbf5db3d7, v62
	v_add_f32_e32 v29, v31, v37
	v_sub_f32_e32 v31, v31, v37
	v_add_f32_e32 v37, v44, v65
	v_fmac_f32_e32 v39, -0.5, v46
	v_fmamk_f32 v44, v67, 0x3f5db3d7, v71
	v_fmac_f32_e32 v71, 0xbf5db3d7, v67
	v_fmamk_f32 v46, v75, 0xbf5db3d7, v72
	v_fmac_f32_e32 v72, 0x3f5db3d7, v75
	v_fmac_f32_e32 v62, 0x3f5db3d7, v48
	v_add_f32_e32 v40, v38, v25
	v_sub_f32_e32 v47, v25, v34
	v_add_f32_e32 v25, v59, v78
	v_mul_f32_e32 v59, -0.5, v56
	v_fmamk_f32 v66, v52, 0x3f5db3d7, v58
	v_fmac_f32_e32 v58, 0xbf5db3d7, v52
	v_fmamk_f32 v52, v77, 0xbf5db3d7, v53
	v_fmac_f32_e32 v53, 0x3f5db3d7, v77
	v_fmac_f32_e32 v33, -0.5, v63
	v_add_f32_e32 v27, v73, v80
	v_fma_f32 v38, -0.5, v42, v38
	v_add_f32_e32 v42, v70, v69
	v_fmamk_f32 v50, v57, 0x3f5db3d7, v32
	v_fmac_f32_e32 v32, 0xbf5db3d7, v57
	v_mul_f32_e32 v57, 0x3f5db3d7, v45
	v_mul_f32_e32 v61, 0xbf5db3d7, v41
	;; [unrolled: 1-line block ×3, first 2 shown]
	v_mul_f32_e32 v69, -0.5, v71
	v_mul_f32_e32 v70, 0xbf5db3d7, v44
	v_mul_f32_e32 v73, -0.5, v72
	v_mul_f32_e32 v63, -0.5, v62
	v_fmac_f32_e32 v59, 0x3f5db3d7, v62
	v_mul_f32_e32 v62, 0x3f5db3d7, v52
	v_mul_f32_e32 v75, 0xbf5db3d7, v66
	v_mul_f32_e32 v74, -0.5, v58
	v_mul_f32_e32 v77, -0.5, v53
	v_add_f32_e32 v26, v28, v26
	v_add_f32_e32 v28, v30, v36
	v_sub_f32_e32 v30, v30, v36
	v_add_f32_e32 v36, v40, v34
	v_add_f32_e32 v40, v49, v35
	v_fmamk_f32 v51, v64, 0xbf5db3d7, v33
	v_fmac_f32_e32 v33, 0x3f5db3d7, v64
	v_fmac_f32_e32 v57, 0.5, v41
	v_fmac_f32_e32 v61, 0.5, v45
	;; [unrolled: 1-line block ×3, first 2 shown]
	v_fmac_f32_e32 v69, 0x3f5db3d7, v72
	v_fmac_f32_e32 v70, 0.5, v46
	v_fmac_f32_e32 v73, 0xbf5db3d7, v71
	v_fmac_f32_e32 v63, 0xbf5db3d7, v56
	v_fmamk_f32 v64, v43, 0x3f5db3d7, v38
	v_fmamk_f32 v65, v47, 0xbf5db3d7, v39
	v_fmac_f32_e32 v62, 0.5, v66
	v_fmac_f32_e32 v75, 0.5, v52
	v_fmac_f32_e32 v38, 0xbf5db3d7, v43
	v_fmac_f32_e32 v39, 0x3f5db3d7, v47
	;; [unrolled: 1-line block ×4, first 2 shown]
	v_sub_f32_e32 v48, v24, v26
	v_sub_f32_e32 v49, v25, v27
	v_add_f32_e32 v34, v36, v40
	v_sub_f32_e32 v36, v36, v40
	v_add_f32_e32 v40, v54, v57
	v_add_f32_e32 v41, v55, v61
	v_sub_f32_e32 v44, v54, v57
	v_sub_f32_e32 v45, v55, v61
	v_add_f32_e32 v52, v50, v67
	v_add_f32_e32 v54, v32, v69
	;; [unrolled: 1-line block ×4, first 2 shown]
	v_sub_f32_e32 v50, v50, v67
	v_sub_f32_e32 v89, v32, v69
	;; [unrolled: 1-line block ×4, first 2 shown]
	v_add_f32_e32 v35, v37, v42
	v_sub_f32_e32 v37, v37, v42
	v_add_f32_e32 v42, v76, v59
	v_add_f32_e32 v43, v68, v63
	v_sub_f32_e32 v46, v76, v59
	v_sub_f32_e32 v47, v68, v63
	v_add_f32_e32 v32, v64, v62
	v_add_f32_e32 v33, v65, v75
	;; [unrolled: 1-line block ×4, first 2 shown]
	v_sub_f32_e32 v58, v64, v62
	v_sub_f32_e32 v38, v38, v74
	;; [unrolled: 1-line block ×4, first 2 shown]
	ds_write2_b64 v108, v[28:29], v[40:41] offset1:17
	ds_write2_b64 v108, v[42:43], v[30:31] offset0:34 offset1:51
	ds_write2_b64 v108, v[44:45], v[46:47] offset0:68 offset1:85
	ds_write2_b64 v107, v[34:35], v[32:33] offset1:17
	ds_write2_b64 v107, v[56:57], v[36:37] offset0:34 offset1:51
	ds_write2_b64 v107, v[58:59], v[38:39] offset0:68 offset1:85
	s_and_saveexec_b32 s1, s0
	s_cbranch_execz .LBB0_11
; %bb.10:
	v_add_lshl_u32 v28, v60, v106, 3
	v_add_f32_e32 v25, v25, v27
	v_add_f32_e32 v24, v24, v26
	v_add_nc_u32_e32 v26, 0x2000, v28
	v_add_nc_u32_e32 v27, 0x2800, v28
	ds_write2_b64 v26, v[24:25], v[52:53] offset0:200 offset1:217
	ds_write2_b64 v26, v[54:55], v[48:49] offset0:234 offset1:251
	;; [unrolled: 1-line block ×3, first 2 shown]
.LBB0_11:
	s_or_b32 exec_lo, exec_lo, s1
	v_mad_u64_u32 v[28:29], null, 0x60, v102, s[2:3]
	s_waitcnt lgkmcnt(0)
	s_barrier
	buffer_gl0_inv
	v_add_nc_u32_e32 v60, 0x400, v104
	v_add_nc_u32_e32 v61, 0x800, v104
	s_clause 0x5
	global_load_dwordx4 v[44:47], v[28:29], off offset:680
	global_load_dwordx4 v[40:43], v[28:29], off offset:696
	global_load_dwordx4 v[32:35], v[28:29], off offset:712
	global_load_dwordx4 v[24:27], v[28:29], off offset:728
	global_load_dwordx4 v[36:39], v[28:29], off offset:744
	global_load_dwordx4 v[28:31], v[28:29], off offset:760
	ds_read2_b64 v[56:59], v104 offset1:102
	ds_read2_b64 v[67:70], v60 offset0:76 offset1:178
	ds_read2_b64 v[75:78], v61 offset0:152 offset1:254
	v_add_nc_u32_e32 v60, 0x1000, v104
	v_add_nc_u32_e32 v61, 0x1800, v104
	ds_read2_b64 v[91:94], v60 offset0:100 offset1:202
	v_add_nc_u32_e32 v60, 0x1c00, v104
	ds_read2_b64 v[95:98], v61 offset0:48 offset1:150
	ds_read2_b64 v[109:112], v60 offset0:124 offset1:226
	ds_read_b64 v[79:80], v104 offset:9792
	s_waitcnt vmcnt(5) lgkmcnt(6)
	v_mul_f32_e32 v81, v58, v45
	s_waitcnt lgkmcnt(5)
	v_mul_f32_e32 v74, v68, v47
	v_mul_f32_e32 v99, v67, v47
	s_waitcnt vmcnt(3) lgkmcnt(4)
	v_mul_f32_e32 v114, v78, v33
	v_mul_f32_e32 v71, v59, v45
	v_fmac_f32_e32 v81, v59, v44
	v_mul_f32_e32 v105, v69, v41
	v_mul_f32_e32 v72, v77, v33
	v_fma_f32 v123, v67, v46, -v74
	v_fmac_f32_e32 v99, v68, v46
	v_fma_f32 v74, v77, v32, -v114
	v_add_f32_e32 v77, v57, v81
	v_mul_f32_e32 v73, v75, v43
	s_waitcnt vmcnt(1) lgkmcnt(2)
	v_mul_f32_e32 v62, v97, v37
	v_fma_f32 v122, v58, v44, -v71
	v_fmac_f32_e32 v105, v70, v40
	v_add_f32_e32 v77, v77, v99
	v_mul_f32_e32 v100, v70, v41
	v_mul_f32_e32 v113, v76, v43
	;; [unrolled: 1-line block ×3, first 2 shown]
	s_waitcnt lgkmcnt(1)
	v_mul_f32_e32 v63, v109, v39
	s_waitcnt vmcnt(0)
	v_mul_f32_e32 v64, v111, v29
	s_waitcnt lgkmcnt(0)
	v_mul_f32_e32 v121, v80, v31
	v_mul_f32_e32 v65, v79, v31
	v_fmac_f32_e32 v73, v76, v42
	v_fmac_f32_e32 v62, v98, v36
	v_add_f32_e32 v76, v56, v122
	v_add_f32_e32 v77, v77, v105
	v_mul_f32_e32 v60, v91, v35
	v_mul_f32_e32 v116, v94, v25
	;; [unrolled: 1-line block ×5, first 2 shown]
	v_fma_f32 v100, v69, v40, -v100
	v_fmac_f32_e32 v72, v78, v32
	v_fmac_f32_e32 v66, v96, v26
	;; [unrolled: 1-line block ×3, first 2 shown]
	v_fma_f32 v67, v79, v30, -v121
	v_fmac_f32_e32 v65, v80, v30
	v_fmac_f32_e32 v64, v112, v28
	v_add_f32_e32 v110, v73, v62
	v_sub_f32_e32 v112, v73, v62
	v_add_f32_e32 v76, v76, v123
	v_add_f32_e32 v73, v77, v73
	v_mul_f32_e32 v61, v93, v25
	v_mul_f32_e32 v117, v96, v27
	v_fma_f32 v75, v75, v42, -v113
	v_fmac_f32_e32 v60, v92, v34
	v_fma_f32 v59, v93, v24, -v116
	v_fma_f32 v70, v97, v36, -v118
	;; [unrolled: 1-line block ×3, first 2 shown]
	v_add_f32_e32 v79, v81, v65
	v_sub_f32_e32 v80, v122, v67
	v_sub_f32_e32 v81, v81, v65
	v_add_f32_e32 v114, v72, v66
	v_sub_f32_e32 v116, v72, v66
	v_add_f32_e32 v76, v76, v100
	v_add_f32_e32 v72, v73, v72
	v_mul_f32_e32 v115, v92, v35
	v_fmac_f32_e32 v61, v94, v24
	v_fma_f32 v71, v95, v26, -v117
	v_fma_f32 v69, v109, v38, -v119
	v_add_f32_e32 v78, v122, v67
	v_add_f32_e32 v92, v99, v64
	v_sub_f32_e32 v93, v123, v68
	v_sub_f32_e32 v94, v99, v64
	v_add_f32_e32 v109, v75, v70
	v_sub_f32_e32 v111, v75, v70
	v_mul_f32_e32 v99, 0xbeedf032, v81
	v_mul_f32_e32 v117, 0xbeedf032, v80
	v_mul_f32_e32 v118, 0xbf52af12, v81
	v_mul_f32_e32 v119, 0xbf52af12, v80
	v_mul_f32_e32 v121, 0xbf7e222b, v80
	v_add_f32_e32 v75, v76, v75
	v_add_f32_e32 v72, v72, v60
	v_fma_f32 v58, v91, v34, -v115
	v_add_f32_e32 v91, v123, v68
	v_add_f32_e32 v95, v100, v69
	;; [unrolled: 1-line block ×3, first 2 shown]
	v_sub_f32_e32 v97, v100, v69
	v_sub_f32_e32 v98, v105, v63
	v_add_f32_e32 v113, v74, v71
	v_sub_f32_e32 v115, v74, v71
	v_mul_f32_e32 v120, 0xbf7e222b, v81
	v_mul_f32_e32 v122, 0xbf6f5d39, v81
	;; [unrolled: 1-line block ×11, first 2 shown]
	v_fma_f32 v100, 0x3f62ad3f, v78, -v99
	v_fmamk_f32 v105, v79, 0x3f62ad3f, v117
	v_fma_f32 v117, 0x3f62ad3f, v79, -v117
	v_fma_f32 v166, 0x3f116cb1, v78, -v118
	v_fmamk_f32 v167, v79, 0x3f116cb1, v119
	v_fmamk_f32 v169, v79, 0x3df6dbef, v121
	v_add_f32_e32 v74, v75, v74
	v_add_f32_e32 v72, v72, v61
	v_mul_f32_e32 v129, 0xbf6f5d39, v93
	v_mul_f32_e32 v130, 0xbe750f2a, v94
	;; [unrolled: 1-line block ×11, first 2 shown]
	v_fmac_f32_e32 v99, 0x3f62ad3f, v78
	v_fmac_f32_e32 v118, 0x3f116cb1, v78
	v_fma_f32 v119, 0x3f116cb1, v79, -v119
	v_fma_f32 v168, 0x3df6dbef, v78, -v120
	v_fmac_f32_e32 v120, 0x3df6dbef, v78
	v_fma_f32 v121, 0x3df6dbef, v79, -v121
	v_fma_f32 v170, 0xbeb58ec6, v78, -v122
	v_fmamk_f32 v171, v79, 0xbeb58ec6, v123
	v_fmac_f32_e32 v122, 0xbeb58ec6, v78
	v_fma_f32 v123, 0xbeb58ec6, v79, -v123
	v_fma_f32 v172, 0xbf3f9e67, v78, -v124
	v_fmamk_f32 v173, v79, 0xbf3f9e67, v125
	;; [unrolled: 4-line block ×4, first 2 shown]
	v_fma_f32 v127, 0x3f116cb1, v92, -v127
	v_fma_f32 v176, 0xbeb58ec6, v91, -v128
	v_fmamk_f32 v179, v92, 0xbf788fa5, v131
	v_add_f32_e32 v76, v56, v100
	v_add_f32_e32 v77, v57, v105
	;; [unrolled: 1-line block ×8, first 2 shown]
	v_mul_f32_e32 v140, 0x3f6f5d39, v98
	v_mul_f32_e32 v142, 0x3eedf032, v98
	;; [unrolled: 1-line block ×5, first 2 shown]
	v_fmac_f32_e32 v126, 0x3f116cb1, v91
	v_fmamk_f32 v177, v92, 0xbeb58ec6, v129
	v_fmac_f32_e32 v128, 0xbeb58ec6, v91
	v_fma_f32 v129, 0xbeb58ec6, v92, -v129
	v_fma_f32 v178, 0xbf788fa5, v91, -v130
	v_fmac_f32_e32 v130, 0xbf788fa5, v91
	v_fma_f32 v131, 0xbf788fa5, v92, -v131
	v_fma_f32 v180, 0xbf3f9e67, v91, -v132
	v_fmamk_f32 v181, v92, 0xbf3f9e67, v133
	v_fmac_f32_e32 v132, 0xbf3f9e67, v91
	v_fma_f32 v133, 0xbf3f9e67, v92, -v133
	v_fma_f32 v182, 0x3df6dbef, v91, -v134
	v_fmamk_f32 v183, v92, 0x3df6dbef, v135
	;; [unrolled: 4-line block ×3, first 2 shown]
	v_fmac_f32_e32 v94, 0x3f62ad3f, v91
	v_fma_f32 v91, 0x3f62ad3f, v92, -v93
	v_fma_f32 v92, 0x3df6dbef, v95, -v136
	;; [unrolled: 1-line block ×3, first 2 shown]
	v_fmamk_f32 v189, v96, 0xbeb58ec6, v141
	v_add_f32_e32 v99, v56, v99
	v_add_f32_e32 v118, v56, v118
	;; [unrolled: 1-line block ×22, first 2 shown]
	v_mul_f32_e32 v137, 0xbf7e222b, v97
	v_mul_f32_e32 v139, 0xbe750f2a, v97
	;; [unrolled: 1-line block ×10, first 2 shown]
	v_fma_f32 v188, 0xbeb58ec6, v95, -v140
	v_fma_f32 v141, 0xbeb58ec6, v96, -v141
	;; [unrolled: 1-line block ×5, first 2 shown]
	v_fmamk_f32 v199, v110, 0x3f62ad3f, v151
	v_add_f32_e32 v124, v56, v124
	v_add_f32_e32 v172, v56, v174
	;; [unrolled: 1-line block ×17, first 2 shown]
	v_mul_f32_e32 v147, 0xbf6f5d39, v111
	v_mul_f32_e32 v149, 0x3f29c268, v111
	;; [unrolled: 1-line block ×3, first 2 shown]
	v_fmamk_f32 v93, v96, 0x3df6dbef, v137
	v_fmac_f32_e32 v136, 0x3df6dbef, v95
	v_fmamk_f32 v187, v96, 0xbf788fa5, v139
	v_fmac_f32_e32 v138, 0xbf788fa5, v95
	v_fma_f32 v139, 0xbf788fa5, v96, -v139
	v_fmac_f32_e32 v140, 0xbeb58ec6, v95
	v_fmac_f32_e32 v142, 0x3f62ad3f, v95
	;; [unrolled: 1-line block ×3, first 2 shown]
	v_fma_f32 v194, 0xbf3f9e67, v95, -v98
	v_fmac_f32_e32 v98, 0xbf3f9e67, v95
	v_fma_f32 v95, 0xbf3f9e67, v96, -v97
	v_fma_f32 v151, 0x3f62ad3f, v110, -v151
	;; [unrolled: 1-line block ×5, first 2 shown]
	v_fmamk_f32 v209, v114, 0x3f116cb1, v161
	v_add_f32_e32 v81, v129, v119
	v_add_f32_e32 v56, v94, v56
	;; [unrolled: 1-line block ×11, first 2 shown]
	v_mul_f32_e32 v146, 0xbf6f5d39, v112
	v_mul_f32_e32 v150, 0x3eedf032, v112
	;; [unrolled: 1-line block ×6, first 2 shown]
	v_fmamk_f32 v191, v96, 0x3f62ad3f, v143
	v_fmamk_f32 v195, v96, 0xbf3f9e67, v97
	v_fmamk_f32 v97, v110, 0xbeb58ec6, v147
	v_fmamk_f32 v197, v110, 0xbf3f9e67, v149
	v_fma_f32 v149, 0xbf3f9e67, v110, -v149
	v_fmac_f32_e32 v152, 0x3df6dbef, v109
	v_fma_f32 v161, 0x3f116cb1, v114, -v161
	v_add_f32_e32 v119, v181, v169
	v_add_f32_e32 v124, v134, v124
	v_add_f32_e32 v126, v184, v172
	v_add_f32_e32 v75, v93, v75
	v_add_f32_e32 v81, v139, v81
	v_add_f32_e32 v93, v140, v105
	v_add_f32_e32 v105, v142, v120
	v_add_f32_e32 v57, v95, v57
	v_add_f32_e32 v94, v151, v94
	v_add_f32_e32 v95, v200, v99
	v_add_f32_e32 v99, v202, v118
	v_add_f32_e32 v66, v206, v78
	v_add_f32_e32 v69, v70, v69
	v_add_f32_e32 v78, v209, v92
	v_add_f32_e32 v92, v62, v65
	v_fma_f32 v62, 0x3f62ad3f, v113, -v164
	v_mul_f32_e32 v155, 0x3e750f2a, v111
	v_mul_f32_e32 v111, 0x3f52af12, v111
	;; [unrolled: 1-line block ×4, first 2 shown]
	v_fma_f32 v137, 0x3df6dbef, v96, -v137
	v_fma_f32 v143, 0x3f62ad3f, v96, -v143
	v_fmamk_f32 v193, v96, 0x3f116cb1, v145
	v_fma_f32 v145, 0x3f116cb1, v96, -v145
	v_fma_f32 v96, 0xbeb58ec6, v109, -v146
	v_fmac_f32_e32 v146, 0xbeb58ec6, v109
	v_fmac_f32_e32 v148, 0xbf3f9e67, v109
	v_fmamk_f32 v201, v110, 0x3df6dbef, v153
	v_fmac_f32_e32 v154, 0xbf788fa5, v109
	v_fma_f32 v204, 0x3f116cb1, v109, -v112
	v_fmamk_f32 v207, v114, 0x3df6dbef, v159
	v_fma_f32 v159, 0x3df6dbef, v114, -v159
	v_fma_f32 v210, 0xbf788fa5, v113, -v162
	v_fmac_f32_e32 v162, 0xbf788fa5, v113
	v_add_f32_e32 v76, v136, v76
	v_add_f32_e32 v80, v138, v80
	;; [unrolled: 1-line block ×11, first 2 shown]
	v_mul_f32_e32 v62, 0xbf6f5d39, v116
	v_mul_f32_e32 v157, 0xbf29c268, v115
	;; [unrolled: 1-line block ×3, first 2 shown]
	v_fma_f32 v147, 0xbeb58ec6, v110, -v147
	v_fma_f32 v198, 0x3f62ad3f, v109, -v150
	v_fmac_f32_e32 v150, 0x3f62ad3f, v109
	v_fma_f32 v153, 0x3df6dbef, v110, -v153
	v_fmamk_f32 v203, v110, 0xbf788fa5, v155
	v_fma_f32 v155, 0xbf788fa5, v110, -v155
	v_fmamk_f32 v205, v110, 0x3f116cb1, v111
	v_fmac_f32_e32 v112, 0x3f116cb1, v109
	v_fma_f32 v109, 0x3f116cb1, v110, -v111
	v_fma_f32 v110, 0xbf3f9e67, v113, -v156
	v_fmac_f32_e32 v156, 0xbf3f9e67, v113
	v_fmac_f32_e32 v158, 0x3df6dbef, v113
	v_fmamk_f32 v211, v114, 0xbf788fa5, v163
	v_add_f32_e32 v121, v133, v123
	v_add_f32_e32 v123, v183, v171
	;; [unrolled: 1-line block ×12, first 2 shown]
	v_fmac_f32_e32 v164, 0x3f62ad3f, v113
	v_fma_f32 v65, 0xbeb58ec6, v113, -v62
	v_sub_f32_e32 v97, v60, v61
	v_mul_f32_e32 v165, 0x3eedf032, v115
	v_fmamk_f32 v111, v114, 0xbf3f9e67, v157
	v_fma_f32 v157, 0xbf3f9e67, v114, -v157
	v_fma_f32 v208, 0x3f116cb1, v113, -v160
	v_add_f32_e32 v125, v135, v125
	v_add_f32_e32 v79, v187, v79
	;; [unrolled: 1-line block ×11, first 2 shown]
	v_mul_f32_e32 v64, 0xbf6f5d39, v115
	v_add_f32_e32 v96, v164, v105
	v_add_f32_e32 v99, v65, v118
	;; [unrolled: 1-line block ×3, first 2 shown]
	v_mul_f32_e32 v65, 0xbe750f2a, v97
	v_sub_f32_e32 v109, v58, v59
	v_add_f32_e32 v117, v143, v121
	v_add_f32_e32 v121, v145, v125
	;; [unrolled: 1-line block ×11, first 2 shown]
	v_fmamk_f32 v63, v114, 0x3f62ad3f, v165
	v_fmamk_f32 v67, v114, 0xbeb58ec6, v64
	v_fmac_f32_e32 v62, 0xbeb58ec6, v113
	v_fma_f32 v58, 0xbeb58ec6, v114, -v64
	v_add_f32_e32 v110, v60, v61
	v_fma_f32 v59, 0xbf788fa5, v105, -v65
	v_mul_f32_e32 v60, 0xbe750f2a, v109
	v_fmac_f32_e32 v160, 0x3f116cb1, v113
	v_fma_f32 v163, 0xbf788fa5, v114, -v163
	v_add_f32_e32 v93, v150, v93
	v_add_f32_e32 v98, v153, v117
	;; [unrolled: 1-line block ×6, first 2 shown]
	v_fma_f32 v63, 0x3f62ad3f, v114, -v165
	v_add_f32_e32 v100, v67, v119
	v_add_f32_e32 v56, v62, v56
	;; [unrolled: 1-line block ×3, first 2 shown]
	v_mul_f32_e32 v58, 0x3eedf032, v97
	v_add_f32_e32 v62, v59, v72
	v_fmamk_f32 v59, v110, 0xbf788fa5, v60
	v_mul_f32_e32 v67, 0x3eedf032, v109
	v_add_f32_e32 v68, v160, v93
	v_add_f32_e32 v93, v163, v98
	;; [unrolled: 1-line block ×3, first 2 shown]
	v_fmac_f32_e32 v65, 0xbf788fa5, v105
	v_fma_f32 v64, 0x3f62ad3f, v105, -v58
	v_add_f32_e32 v63, v59, v73
	v_fmamk_f32 v59, v110, 0x3f62ad3f, v67
	v_mul_f32_e32 v72, 0xbf29c268, v97
	v_fma_f32 v61, 0xbf788fa5, v110, -v60
	v_add_f32_e32 v60, v65, v74
	v_add_f32_e32 v64, v64, v66
	v_fmac_f32_e32 v58, 0x3f62ad3f, v105
	v_fma_f32 v66, 0x3f62ad3f, v110, -v67
	v_mul_f32_e32 v67, 0xbf29c268, v109
	v_add_f32_e32 v65, v59, v71
	v_fma_f32 v71, 0xbf3f9e67, v105, -v72
	v_add_f32_e32 v61, v61, v75
	v_add_f32_e32 v58, v58, v76
	;; [unrolled: 1-line block ×3, first 2 shown]
	v_fmamk_f32 v70, v110, 0xbf3f9e67, v67
	v_mul_f32_e32 v74, 0x3f52af12, v97
	v_add_f32_e32 v66, v71, v77
	v_fma_f32 v71, 0xbf3f9e67, v110, -v67
	v_mul_f32_e32 v75, 0x3f52af12, v109
	v_mul_f32_e32 v76, 0xbf6f5d39, v97
	v_fmac_f32_e32 v72, 0xbf3f9e67, v105
	v_add_f32_e32 v67, v70, v78
	v_fma_f32 v70, 0x3f116cb1, v105, -v74
	v_add_f32_e32 v73, v71, v69
	v_fmamk_f32 v69, v110, 0x3f116cb1, v75
	v_fmac_f32_e32 v74, 0x3f116cb1, v105
	v_fma_f32 v71, 0x3f116cb1, v110, -v75
	v_fma_f32 v75, 0xbeb58ec6, v105, -v76
	v_mul_f32_e32 v77, 0xbf6f5d39, v109
	v_add_f32_e32 v72, v72, v68
	v_add_f32_e32 v68, v70, v79
	;; [unrolled: 1-line block ×4, first 2 shown]
	v_fmamk_f32 v75, v110, 0xbeb58ec6, v77
	v_fmac_f32_e32 v76, 0xbeb58ec6, v105
	v_fma_f32 v77, 0xbeb58ec6, v110, -v77
	v_mul_f32_e32 v78, 0x3f7e222b, v97
	v_mul_f32_e32 v79, 0x3f7e222b, v109
	v_add_f32_e32 v69, v69, v80
	v_add_f32_e32 v80, v76, v96
	;; [unrolled: 1-line block ×3, first 2 shown]
	v_fma_f32 v76, 0x3df6dbef, v105, -v78
	v_fmamk_f32 v77, v110, 0x3df6dbef, v79
	v_fmac_f32_e32 v78, 0x3df6dbef, v105
	v_fma_f32 v79, 0x3df6dbef, v110, -v79
	v_lshl_add_u32 v105, v102, 3, v103
	v_add_f32_e32 v71, v71, v93
	v_add_f32_e32 v75, v75, v95
	;; [unrolled: 1-line block ×6, first 2 shown]
	v_add_nc_u32_e32 v56, 0x800, v105
	v_add_nc_u32_e32 v57, 0x1400, v105
	;; [unrolled: 1-line block ×5, first 2 shown]
	ds_write_b64 v105, v[91:92]
	ds_write2_b64 v105, v[62:63], v[64:65] offset0:102 offset1:204
	ds_write2_b64 v56, v[66:67], v[68:69] offset0:50 offset1:152
	;; [unrolled: 1-line block ×6, first 2 shown]
	s_waitcnt lgkmcnt(0)
	s_barrier
	buffer_gl0_inv
	s_and_saveexec_b32 s2, vcc_lo
	s_cbranch_execz .LBB0_13
; %bb.12:
	v_add_co_u32 v113, s1, s12, v101
	v_add_co_ci_u32_e64 v114, null, s13, 0, s1
	v_add_nc_u32_e32 v168, 0x400, v105
	v_add_co_u32 v95, s1, 0x2800, v113
	v_add_co_ci_u32_e64 v96, s1, 0, v114, s1
	v_add_co_u32 v97, s1, 0x2970, v113
	v_add_co_ci_u32_e64 v98, s1, 0, v114, s1
	global_load_dwordx2 v[95:96], v[95:96], off offset:368
	v_add_co_u32 v99, s1, 0x3000, v113
	v_add_co_ci_u32_e64 v100, s1, 0, v114, s1
	v_add_co_u32 v109, s1, 0x3800, v113
	v_add_co_ci_u32_e64 v110, s1, 0, v114, s1
	s_clause 0x3
	global_load_dwordx2 v[137:138], v[97:98], off offset:624
	global_load_dwordx2 v[139:140], v[97:98], off offset:1248
	;; [unrolled: 1-line block ×4, first 2 shown]
	v_add_co_u32 v97, s1, 0x4000, v113
	v_add_co_ci_u32_e64 v98, s1, 0, v114, s1
	v_add_co_u32 v111, s1, 0x4800, v113
	v_add_co_ci_u32_e64 v112, s1, 0, v114, s1
	s_clause 0x8
	global_load_dwordx2 v[99:100], v[99:100], off offset:1440
	global_load_dwordx2 v[145:146], v[109:110], off offset:16
	;; [unrolled: 1-line block ×9, first 2 shown]
	v_add_co_u32 v97, s1, 0x5000, v113
	v_add_co_ci_u32_e64 v98, s1, 0, v114, s1
	s_clause 0x2
	global_load_dwordx2 v[161:162], v[111:112], off offset:912
	global_load_dwordx2 v[163:164], v[111:112], off offset:1536
	;; [unrolled: 1-line block ×3, first 2 shown]
	ds_read_b64 v[97:98], v105
	v_add_nc_u32_e32 v169, 0x1000, v105
	v_add_nc_u32_e32 v170, 0x1c00, v105
	s_waitcnt vmcnt(16) lgkmcnt(0)
	v_mul_f32_e32 v109, v98, v96
	v_mul_f32_e32 v110, v97, v96
	v_fma_f32 v109, v97, v95, -v109
	v_fmac_f32_e32 v110, v98, v95
	ds_write_b64 v105, v[109:110]
	ds_read2_b64 v[95:98], v105 offset0:78 offset1:156
	ds_read2_b64 v[109:112], v168 offset0:106 offset1:184
	;; [unrolled: 1-line block ×8, first 2 shown]
	s_waitcnt vmcnt(7) lgkmcnt(3)
	v_mul_f32_e32 v179, v122, v152
	v_mul_f32_e32 v171, v96, v138
	;; [unrolled: 1-line block ×18, first 2 shown]
	s_waitcnt vmcnt(6)
	v_mul_f32_e32 v180, v124, v154
	v_mul_f32_e32 v152, v123, v154
	s_waitcnt vmcnt(5) lgkmcnt(2)
	v_mul_f32_e32 v181, v126, v156
	v_mul_f32_e32 v154, v125, v156
	s_waitcnt vmcnt(4)
	v_mul_f32_e32 v182, v128, v158
	v_mul_f32_e32 v156, v127, v158
	s_waitcnt vmcnt(3) lgkmcnt(1)
	v_mul_f32_e32 v183, v130, v160
	v_mul_f32_e32 v158, v129, v160
	;; [unrolled: 6-line block ×3, first 2 shown]
	s_waitcnt vmcnt(0)
	v_mul_f32_e32 v186, v136, v166
	v_mul_f32_e32 v164, v135, v166
	v_fma_f32 v166, v95, v137, -v171
	v_fmac_f32_e32 v167, v96, v137
	v_fma_f32 v137, v97, v139, -v172
	v_fmac_f32_e32 v138, v98, v139
	;; [unrolled: 2-line block ×16, first 2 shown]
	ds_write2_b64 v105, v[166:167], v[137:138] offset0:78 offset1:156
	ds_write2_b64 v168, v[139:140], v[141:142] offset0:106 offset1:184
	ds_write2_b64 v56, v[143:144], v[99:100] offset0:134 offset1:212
	ds_write2_b64 v169, v[145:146], v[147:148] offset0:34 offset1:112
	ds_write2_b64 v57, v[149:150], v[151:152] offset0:62 offset1:140
	ds_write2_b64 v93, v[153:154], v[155:156] offset0:90 offset1:168
	ds_write2_b64 v170, v[157:158], v[159:160] offset0:118 offset1:196
	ds_write2_b64 v94, v[161:162], v[163:164] offset0:146 offset1:224
.LBB0_13:
	s_or_b32 exec_lo, exec_lo, s2
	s_waitcnt lgkmcnt(0)
	s_barrier
	buffer_gl0_inv
	s_and_saveexec_b32 s1, vcc_lo
	s_cbranch_execz .LBB0_15
; %bb.14:
	v_add_nc_u32_e32 v48, 0x400, v105
	v_add_nc_u32_e32 v49, 0x800, v105
	;; [unrolled: 1-line block ×3, first 2 shown]
	ds_read_b64 v[91:92], v105
	ds_read2_b64 v[62:65], v105 offset0:78 offset1:156
	ds_read2_b64 v[66:69], v48 offset0:106 offset1:184
	ds_read2_b64 v[74:77], v49 offset0:134 offset1:212
	v_add_nc_u32_e32 v48, 0x1000, v105
	v_add_nc_u32_e32 v49, 0x1400, v105
	;; [unrolled: 1-line block ×4, first 2 shown]
	ds_read2_b64 v[78:81], v48 offset0:34 offset1:112
	ds_read2_b64 v[70:73], v49 offset0:62 offset1:140
	;; [unrolled: 1-line block ×5, first 2 shown]
.LBB0_15:
	s_or_b32 exec_lo, exec_lo, s1
	s_waitcnt lgkmcnt(0)
	v_sub_f32_e32 v154, v63, v51
	v_add_f32_e32 v156, v51, v63
	v_add_f32_e32 v109, v50, v62
	v_sub_f32_e32 v166, v65, v49
	v_sub_f32_e32 v111, v62, v50
	v_mul_f32_e32 v117, 0xbeb8f4ab, v154
	v_mul_f32_e32 v123, 0xbf2c7751, v154
	;; [unrolled: 1-line block ×5, first 2 shown]
	v_fma_f32 v56, 0x3f6eb680, v109, -v117
	v_fma_f32 v93, 0x3f3d2fb0, v109, -v123
	v_add_f32_e32 v168, v49, v65
	v_add_f32_e32 v110, v48, v64
	v_mul_f32_e32 v121, 0xbf2c7751, v166
	v_mul_f32_e32 v130, 0xbf7ee86f, v166
	v_fmamk_f32 v57, v111, 0xbeb8f4ab, v118
	v_mul_f32_e32 v128, 0xbf65296c, v154
	v_add_f32_e32 v56, v91, v56
	v_add_f32_e32 v93, v91, v93
	v_fmamk_f32 v94, v111, 0xbf2c7751, v125
	v_fmamk_f32 v96, v111, 0xbf65296c, v133
	v_mul_f32_e32 v152, 0xbf763a35, v154
	v_sub_f32_e32 v112, v64, v48
	v_mul_f32_e32 v122, 0x3f3d2fb0, v168
	v_fma_f32 v113, 0x3f3d2fb0, v110, -v121
	v_fma_f32 v115, 0x3dbcf732, v110, -v130
	v_mul_f32_e32 v134, 0x3dbcf732, v168
	v_mul_f32_e32 v143, 0xbf1a4643, v168
	v_add_f32_e32 v57, v92, v57
	v_mul_f32_e32 v142, 0xbf7ee86f, v154
	v_mul_f32_e32 v144, 0x3dbcf732, v156
	v_fma_f32 v95, 0x3ee437d1, v109, -v128
	v_add_f32_e32 v94, v92, v94
	v_add_f32_e32 v96, v92, v96
	v_fma_f32 v99, 0xbe8c1d8e, v109, -v152
	v_fmamk_f32 v114, v112, 0xbf2c7751, v122
	v_add_f32_e32 v56, v113, v56
	v_add_f32_e32 v93, v115, v93
	v_mul_f32_e32 v139, 0xbf4c4adb, v166
	v_fmamk_f32 v113, v112, 0xbf7ee86f, v134
	v_fmamk_f32 v115, v112, 0xbf4c4adb, v143
	v_mul_f32_e32 v165, 0x3f06c442, v166
	v_sub_f32_e32 v175, v67, v55
	v_fma_f32 v97, 0x3dbcf732, v109, -v142
	v_fmamk_f32 v98, v111, 0xbf7ee86f, v144
	v_add_f32_e32 v95, v91, v95
	v_mul_f32_e32 v157, 0xbe8c1d8e, v156
	v_add_f32_e32 v99, v91, v99
	v_add_f32_e32 v57, v114, v57
	v_mul_f32_e32 v150, 0xbe3c28d5, v166
	v_mul_f32_e32 v153, 0xbf7ba420, v168
	v_fma_f32 v114, 0xbf1a4643, v110, -v139
	v_add_f32_e32 v94, v113, v94
	v_add_f32_e32 v96, v115, v96
	;; [unrolled: 1-line block ×4, first 2 shown]
	v_fma_f32 v115, 0xbf59a7d5, v110, -v165
	v_mul_f32_e32 v136, 0xbf4c4adb, v175
	v_add_f32_e32 v97, v91, v97
	v_add_f32_e32 v98, v92, v98
	v_fmamk_f32 v100, v111, 0xbf763a35, v157
	v_fma_f32 v116, 0xbf7ba420, v110, -v150
	v_fmamk_f32 v119, v112, 0xbe3c28d5, v153
	v_add_f32_e32 v95, v114, v95
	v_mul_f32_e32 v169, 0xbf59a7d5, v168
	v_sub_f32_e32 v114, v66, v54
	v_mul_f32_e32 v127, 0xbf65296c, v175
	v_add_f32_e32 v99, v115, v99
	v_fma_f32 v115, 0xbf1a4643, v113, -v136
	v_mul_f32_e32 v141, 0xbf1a4643, v179
	v_add_f32_e32 v100, v92, v100
	v_add_f32_e32 v97, v116, v97
	;; [unrolled: 1-line block ×3, first 2 shown]
	v_mul_f32_e32 v129, 0x3ee437d1, v179
	v_fmamk_f32 v116, v112, 0x3f06c442, v169
	v_fma_f32 v119, 0x3ee437d1, v113, -v127
	v_add_f32_e32 v93, v115, v93
	v_mul_f32_e32 v148, 0x3e3c28d5, v175
	v_mul_f32_e32 v151, 0xbf7ba420, v179
	;; [unrolled: 1-line block ×3, first 2 shown]
	v_fmamk_f32 v115, v114, 0xbf4c4adb, v141
	v_sub_f32_e32 v190, v69, v53
	v_fmamk_f32 v120, v114, 0xbf65296c, v129
	v_add_f32_e32 v100, v116, v100
	v_add_f32_e32 v56, v119, v56
	v_mul_f32_e32 v162, 0x3f763a35, v175
	v_fma_f32 v116, 0xbf7ba420, v113, -v148
	v_fmamk_f32 v119, v114, 0x3e3c28d5, v151
	v_fmamk_f32 v124, v114, 0x3f763a35, v164
	v_add_f32_e32 v94, v115, v94
	v_mul_f32_e32 v176, 0x3f2c7751, v175
	v_add_f32_e32 v192, v53, v69
	v_add_f32_e32 v115, v52, v68
	v_mul_f32_e32 v135, 0xbf7ee86f, v190
	v_add_f32_e32 v57, v120, v57
	v_fma_f32 v120, 0xbe8c1d8e, v113, -v162
	v_add_f32_e32 v95, v116, v95
	v_add_f32_e32 v96, v119, v96
	;; [unrolled: 1-line block ×3, first 2 shown]
	v_mul_f32_e32 v182, 0x3f3d2fb0, v179
	v_sub_f32_e32 v116, v68, v52
	v_fma_f32 v119, 0x3f3d2fb0, v113, -v176
	v_mul_f32_e32 v146, 0xbe3c28d5, v190
	v_fma_f32 v124, 0x3dbcf732, v115, -v135
	v_mul_f32_e32 v163, 0xbe8c1d8e, v192
	v_add_f32_e32 v97, v120, v97
	v_fmamk_f32 v120, v114, 0x3f2c7751, v182
	v_add_f32_e32 v99, v119, v99
	v_fma_f32 v119, 0xbf7ba420, v115, -v146
	v_add_f32_e32 v56, v124, v56
	v_mul_f32_e32 v149, 0xbf7ba420, v192
	v_mul_f32_e32 v160, 0x3f763a35, v190
	v_fmamk_f32 v124, v116, 0x3f763a35, v163
	v_mul_f32_e32 v188, 0xbf65296c, v190
	v_add_f32_e32 v100, v120, v100
	v_add_f32_e32 v93, v119, v93
	v_fmamk_f32 v119, v116, 0xbe3c28d5, v149
	v_mul_f32_e32 v177, 0x3f6eb680, v192
	v_fma_f32 v120, 0xbe8c1d8e, v115, -v160
	v_add_f32_e32 v96, v124, v96
	v_mul_f32_e32 v191, 0x3ee437d1, v192
	v_add_f32_e32 v201, v61, v75
	v_fma_f32 v124, 0x3ee437d1, v115, -v188
	v_mul_f32_e32 v137, 0x3dbcf732, v192
	v_add_f32_e32 v94, v119, v94
	v_fmamk_f32 v119, v116, 0x3eb8f4ab, v177
	v_add_f32_e32 v95, v120, v95
	v_sub_f32_e32 v200, v75, v61
	v_sub_f32_e32 v120, v74, v60
	v_add_f32_e32 v99, v124, v99
	v_fmamk_f32 v124, v116, 0xbf65296c, v191
	v_mul_f32_e32 v161, 0xbf59a7d5, v201
	v_fmamk_f32 v126, v116, 0xbf7ee86f, v137
	v_mul_f32_e32 v174, 0x3eb8f4ab, v190
	v_add_f32_e32 v98, v119, v98
	v_add_f32_e32 v119, v60, v74
	v_mul_f32_e32 v147, 0xbe8c1d8e, v201
	v_add_f32_e32 v100, v124, v100
	v_fmamk_f32 v124, v120, 0x3f06c442, v161
	v_mul_f32_e32 v173, 0x3f2c7751, v200
	v_add_f32_e32 v57, v126, v57
	v_fma_f32 v126, 0x3f6eb680, v115, -v174
	v_mul_f32_e32 v145, 0xbf763a35, v200
	v_mul_f32_e32 v158, 0x3f06c442, v200
	v_fmamk_f32 v131, v120, 0xbf763a35, v147
	v_mul_f32_e32 v186, 0xbf65296c, v200
	v_add_f32_e32 v94, v124, v94
	v_fma_f32 v124, 0x3f3d2fb0, v119, -v173
	v_mul_f32_e32 v197, 0xbe3c28d5, v200
	v_add_f32_e32 v97, v126, v97
	v_fma_f32 v126, 0xbe8c1d8e, v119, -v145
	v_fma_f32 v132, 0xbf59a7d5, v119, -v158
	v_add_f32_e32 v57, v131, v57
	v_mul_f32_e32 v178, 0x3f3d2fb0, v201
	v_mul_f32_e32 v189, 0x3ee437d1, v201
	v_fma_f32 v131, 0x3ee437d1, v119, -v186
	v_add_f32_e32 v95, v124, v95
	v_fma_f32 v124, 0xbf7ba420, v119, -v197
	v_sub_f32_e32 v208, v77, v59
	v_mul_f32_e32 v202, 0xbf7ba420, v201
	v_add_f32_e32 v56, v126, v56
	v_add_f32_e32 v93, v132, v93
	v_fmamk_f32 v126, v120, 0x3f2c7751, v178
	v_fmamk_f32 v132, v120, 0xbf65296c, v189
	v_add_f32_e32 v97, v131, v97
	v_add_f32_e32 v210, v59, v77
	;; [unrolled: 1-line block ×4, first 2 shown]
	v_mul_f32_e32 v155, 0xbf4c4adb, v208
	v_fmamk_f32 v131, v120, 0xbe3c28d5, v202
	v_mul_f32_e32 v170, 0x3f763a35, v208
	v_add_f32_e32 v96, v126, v96
	v_add_f32_e32 v98, v132, v98
	v_sub_f32_e32 v126, v76, v58
	v_mul_f32_e32 v159, 0xbf1a4643, v210
	v_fma_f32 v132, 0xbf1a4643, v124, -v155
	v_mul_f32_e32 v172, 0xbe8c1d8e, v210
	v_add_f32_e32 v100, v131, v100
	v_fma_f32 v131, 0xbe8c1d8e, v124, -v170
	v_mul_f32_e32 v185, 0xbeb8f4ab, v208
	v_fmamk_f32 v138, v126, 0xbf4c4adb, v159
	v_add_f32_e32 v56, v132, v56
	v_fmamk_f32 v132, v126, 0x3f763a35, v172
	v_add_f32_e32 v93, v131, v93
	v_mul_f32_e32 v187, 0x3f6eb680, v210
	v_mul_f32_e32 v196, 0xbf06c442, v208
	v_fma_f32 v131, 0x3f6eb680, v124, -v185
	v_mul_f32_e32 v199, 0xbf59a7d5, v210
	v_add_f32_e32 v57, v138, v57
	v_add_f32_e32 v94, v132, v94
	v_fmamk_f32 v132, v126, 0xbeb8f4ab, v187
	v_mul_f32_e32 v206, 0x3f7ee86f, v208
	v_fma_f32 v138, 0xbf59a7d5, v124, -v196
	v_add_f32_e32 v95, v131, v95
	v_fmamk_f32 v131, v126, 0xbf06c442, v199
	v_mul_f32_e32 v209, 0x3dbcf732, v210
	v_sub_f32_e32 v214, v79, v73
	v_add_f32_e32 v96, v132, v96
	v_fma_f32 v132, 0x3dbcf732, v124, -v206
	v_add_f32_e32 v97, v138, v97
	v_add_f32_e32 v98, v131, v98
	;; [unrolled: 1-line block ×3, first 2 shown]
	v_fmamk_f32 v138, v126, 0x3f7ee86f, v209
	v_add_f32_e32 v131, v72, v78
	v_mul_f32_e32 v167, 0xbf06c442, v214
	v_add_f32_e32 v99, v132, v99
	v_sub_f32_e32 v132, v78, v72
	v_add_f32_e32 v100, v138, v100
	v_mul_f32_e32 v184, 0x3ee437d1, v216
	v_fma_f32 v138, 0xbf59a7d5, v131, -v167
	v_mul_f32_e32 v171, 0xbf59a7d5, v216
	v_mul_f32_e32 v198, 0x3dbcf732, v216
	;; [unrolled: 1-line block ×4, first 2 shown]
	v_add_f32_e32 v56, v138, v56
	v_fmamk_f32 v138, v132, 0x3f65296c, v184
	v_fmamk_f32 v140, v132, 0xbf06c442, v171
	v_mul_f32_e32 v213, 0xbeb8f4ab, v214
	v_fma_f32 v180, 0x3ee437d1, v131, -v183
	v_mul_f32_e32 v204, 0x3f4c4adb, v214
	v_add_f32_e32 v94, v138, v94
	v_fmamk_f32 v138, v132, 0xbf7ee86f, v198
	v_add_f32_e32 v57, v140, v57
	v_fma_f32 v140, 0x3dbcf732, v131, -v195
	v_mul_f32_e32 v207, 0xbf1a4643, v216
	v_sub_f32_e32 v219, v81, v71
	v_add_f32_e32 v96, v138, v96
	v_fma_f32 v138, 0x3f6eb680, v131, -v213
	v_add_f32_e32 v93, v180, v93
	v_add_f32_e32 v95, v140, v95
	v_fma_f32 v140, 0xbf1a4643, v131, -v204
	v_mul_f32_e32 v215, 0x3f6eb680, v216
	v_fmamk_f32 v180, v132, 0x3f4c4adb, v207
	v_add_f32_e32 v223, v138, v99
	v_add_f32_e32 v220, v71, v81
	;; [unrolled: 1-line block ×3, first 2 shown]
	v_mul_f32_e32 v203, 0xbf06c442, v219
	v_add_f32_e32 v221, v140, v97
	v_fmamk_f32 v97, v132, 0xbeb8f4ab, v215
	v_add_f32_e32 v222, v180, v98
	v_mul_f32_e32 v180, 0xbe3c28d5, v219
	v_sub_f32_e32 v140, v80, v70
	v_mul_f32_e32 v181, 0xbf7ba420, v220
	v_mul_f32_e32 v193, 0x3eb8f4ab, v219
	;; [unrolled: 1-line block ×3, first 2 shown]
	v_fma_f32 v211, 0xbf59a7d5, v138, -v203
	v_add_f32_e32 v224, v97, v100
	v_fma_f32 v97, 0xbf7ba420, v138, -v180
	v_fmamk_f32 v98, v140, 0xbe3c28d5, v181
	v_fma_f32 v99, 0x3f6eb680, v138, -v193
	v_fmamk_f32 v100, v140, 0x3eb8f4ab, v194
	v_mul_f32_e32 v205, 0xbf59a7d5, v220
	v_add_f32_e32 v95, v211, v95
	v_mul_f32_e32 v211, 0x3f2c7751, v219
	v_mul_f32_e32 v212, 0x3f3d2fb0, v220
	;; [unrolled: 1-line block ×4, first 2 shown]
	v_add_f32_e32 v56, v97, v56
	v_add_f32_e32 v57, v98, v57
	v_add_f32_e32 v97, v99, v93
	v_add_f32_e32 v98, v100, v94
	v_fmamk_f32 v93, v140, 0xbf06c442, v205
	v_fma_f32 v94, 0x3f3d2fb0, v138, -v211
	v_fmamk_f32 v100, v140, 0x3f2c7751, v212
	v_fma_f32 v225, 0xbf1a4643, v138, -v217
	v_fmamk_f32 v226, v140, 0xbf4c4adb, v218
	v_add_f32_e32 v96, v93, v96
	v_add_f32_e32 v99, v94, v221
	;; [unrolled: 1-line block ×5, first 2 shown]
	s_barrier
	buffer_gl0_inv
	s_and_saveexec_b32 s1, vcc_lo
	s_cbranch_execz .LBB0_17
; %bb.16:
	v_add_f32_e32 v62, v62, v91
	v_add_f32_e32 v63, v63, v92
	v_mul_f32_e32 v221, 0x3dbcf732, v220
	v_mul_f32_e32 v222, 0x3f7ee86f, v219
	v_mul_f32_e32 v223, 0xbf59a7d5, v156
	v_add_f32_e32 v62, v64, v62
	v_add_f32_e32 v63, v65, v63
	v_mul_f32_e32 v224, 0x3ee437d1, v168
	v_mul_f32_e32 v225, 0x3dbcf732, v179
	v_mul_f32_e32 v226, 0xbf1a4643, v192
	;; [unrolled: 5-line block ×13, first 2 shown]
	v_add_f32_e32 v52, v54, v52
	v_add_f32_e32 v53, v55, v53
	v_fmamk_f32 v54, v110, 0x3ee437d1, v229
	v_fmamk_f32 v55, v112, 0xbf763a35, v168
	;; [unrolled: 1-line block ×3, first 2 shown]
	v_add_f32_e32 v48, v48, v52
	v_add_f32_e32 v49, v49, v53
	v_fmamk_f32 v52, v110, 0x3f6eb680, v71
	v_fmamk_f32 v53, v112, 0xbf65296c, v224
	v_mul_f32_e32 v210, 0x3f3d2fb0, v210
	v_add_f32_e32 v48, v50, v48
	v_fmamk_f32 v50, v111, 0x3e3c28d5, v68
	v_add_f32_e32 v49, v51, v49
	v_fmamk_f32 v51, v112, 0xbeb8f4ab, v69
	v_mul_f32_e32 v175, 0xbeb8f4ab, v175
	v_mul_f32_e32 v190, 0xbf06c442, v190
	v_add_f32_e32 v50, v92, v50
	v_mul_f32_e32 v200, 0x3f7ee86f, v200
	v_mul_f32_e32 v216, 0xbf7ba420, v216
	;; [unrolled: 1-line block ×4, first 2 shown]
	v_add_f32_e32 v50, v51, v50
	v_fmamk_f32 v51, v109, 0xbf7ba420, v70
	v_mul_f32_e32 v220, 0x3ee437d1, v220
	v_mul_f32_e32 v219, 0x3f65296c, v219
	;; [unrolled: 1-line block ×4, first 2 shown]
	v_add_f32_e32 v51, v91, v51
	v_mul_f32_e32 v61, 0xbf59a7d5, v110
	v_mul_f32_e32 v63, 0xbf7ba420, v110
	v_sub_f32_e32 v59, v169, v59
	v_sub_f32_e32 v60, v191, v60
	v_add_f32_e32 v51, v52, v51
	v_fmamk_f32 v52, v114, 0x3f06c442, v72
	v_add_f32_e32 v61, v61, v165
	v_add_f32_e32 v63, v63, v150
	v_mul_f32_e32 v65, 0xbeb8f4ab, v126
	v_mul_f32_e32 v67, 0x3dbcf732, v110
	v_add_f32_e32 v50, v52, v50
	v_fmamk_f32 v52, v113, 0xbf59a7d5, v73
	v_fmac_f32_e32 v68, 0xbe3c28d5, v111
	v_sub_f32_e32 v65, v187, v65
	v_add_f32_e32 v67, v67, v130
	v_fmac_f32_e32 v69, 0x3eb8f4ab, v112
	v_add_f32_e32 v51, v52, v51
	v_fmamk_f32 v52, v116, 0xbf2c7751, v74
	v_add_f32_e32 v68, v92, v68
	v_fmac_f32_e32 v72, 0xbf06c442, v114
	v_fmac_f32_e32 v74, 0x3f2c7751, v116
	;; [unrolled: 1-line block ×3, first 2 shown]
	v_add_f32_e32 v50, v52, v50
	v_fmamk_f32 v52, v115, 0x3f3d2fb0, v75
	v_add_f32_e32 v68, v69, v68
	v_fma_f32 v69, 0xbf7ba420, v109, -v70
	v_fma_f32 v70, 0x3f6eb680, v110, -v71
	;; [unrolled: 1-line block ×3, first 2 shown]
	v_add_f32_e32 v51, v52, v51
	v_fmamk_f32 v52, v120, 0x3f4c4adb, v76
	v_add_f32_e32 v69, v91, v69
	v_add_f32_e32 v68, v72, v68
	v_fmac_f32_e32 v76, 0xbf4c4adb, v120
	v_fmac_f32_e32 v168, 0x3f763a35, v112
	v_add_f32_e32 v50, v52, v50
	v_fmamk_f32 v52, v119, 0xbf1a4643, v77
	v_add_f32_e32 v69, v70, v69
	v_fma_f32 v70, 0xbf59a7d5, v113, -v73
	v_add_f32_e32 v68, v74, v68
	v_fma_f32 v74, 0x3ee437d1, v110, -v229
	v_add_f32_e32 v51, v52, v51
	v_fmamk_f32 v52, v126, 0xbf65296c, v78
	v_add_f32_e32 v69, v70, v69
	v_fma_f32 v70, 0x3f3d2fb0, v115, -v75
	v_add_f32_e32 v68, v76, v68
	v_fmac_f32_e32 v78, 0x3f65296c, v126
	v_add_f32_e32 v50, v52, v50
	v_fmamk_f32 v52, v124, 0x3ee437d1, v79
	v_add_f32_e32 v69, v70, v69
	v_fma_f32 v70, 0xbf1a4643, v119, -v77
	v_add_f32_e32 v68, v78, v68
	v_fma_f32 v75, 0xbf1a4643, v115, -v233
	v_add_f32_e32 v51, v52, v51
	v_fmamk_f32 v52, v132, 0x3f763a35, v80
	v_add_f32_e32 v69, v70, v69
	v_fma_f32 v70, 0x3ee437d1, v124, -v79
	v_fmac_f32_e32 v80, 0xbf763a35, v132
	v_fma_f32 v76, 0xbe8c1d8e, v138, -v238
	v_add_f32_e32 v50, v52, v50
	v_fmamk_f32 v52, v131, 0xbe8c1d8e, v81
	v_add_f32_e32 v69, v70, v69
	v_fma_f32 v70, 0xbe8c1d8e, v131, -v81
	v_add_f32_e32 v68, v80, v68
	v_fma_f32 v77, 0x3ee437d1, v138, -v219
	v_add_f32_e32 v52, v52, v51
	v_fmamk_f32 v51, v140, 0xbf7ee86f, v221
	v_add_f32_e32 v70, v70, v69
	v_fmac_f32_e32 v221, 0x3f7ee86f, v140
	v_add_f32_e32 v51, v51, v50
	v_fmamk_f32 v50, v138, 0x3dbcf732, v222
	v_add_f32_e32 v69, v221, v68
	v_add_f32_e32 v68, v71, v70
	v_fma_f32 v70, 0xbf59a7d5, v109, -v228
	v_fma_f32 v71, 0xbf1a4643, v109, -v154
	v_add_f32_e32 v50, v50, v52
	v_fmamk_f32 v52, v111, 0x3f06c442, v223
	v_fmac_f32_e32 v223, 0xbf06c442, v111
	v_add_f32_e32 v70, v91, v70
	v_add_f32_e32 v71, v91, v71
	;; [unrolled: 1-line block ×5, first 2 shown]
	v_fma_f32 v74, 0x3dbcf732, v113, -v231
	v_add_f32_e32 v52, v53, v52
	v_fmamk_f32 v53, v114, 0x3f7ee86f, v225
	v_add_f32_e32 v72, v224, v72
	v_add_f32_e32 v70, v74, v70
	v_fma_f32 v74, 0xbe8c1d8e, v110, -v166
	v_fmac_f32_e32 v225, 0xbf7ee86f, v114
	v_add_f32_e32 v52, v53, v52
	v_fmamk_f32 v53, v116, 0xbf4c4adb, v226
	v_add_f32_e32 v70, v75, v70
	v_add_f32_e32 v71, v74, v71
	v_fma_f32 v74, 0x3f6eb680, v113, -v175
	v_fma_f32 v75, 0x3f6eb680, v119, -v234
	v_add_f32_e32 v52, v53, v52
	v_fmamk_f32 v53, v120, 0x3eb8f4ab, v227
	v_add_f32_e32 v72, v225, v72
	v_fmac_f32_e32 v226, 0x3f4c4adb, v116
	v_add_f32_e32 v70, v75, v70
	v_add_f32_e32 v71, v74, v71
	;; [unrolled: 1-line block ×3, first 2 shown]
	v_fmamk_f32 v53, v109, 0xbf59a7d5, v228
	v_fma_f32 v74, 0xbf59a7d5, v115, -v190
	v_fma_f32 v75, 0xbf7ba420, v124, -v235
	v_add_f32_e32 v72, v226, v72
	v_fmac_f32_e32 v227, 0xbeb8f4ab, v120
	v_add_f32_e32 v53, v91, v53
	v_add_f32_e32 v71, v74, v71
	;; [unrolled: 1-line block ×3, first 2 shown]
	v_fma_f32 v74, 0x3dbcf732, v119, -v200
	v_fma_f32 v75, 0x3f3d2fb0, v131, -v236
	v_add_f32_e32 v53, v54, v53
	v_fmamk_f32 v54, v126, 0x3e3c28d5, v230
	v_add_f32_e32 v72, v227, v72
	v_fmac_f32_e32 v230, 0xbe3c28d5, v126
	v_add_f32_e32 v71, v74, v71
	v_fma_f32 v74, 0x3f3d2fb0, v124, -v208
	v_add_f32_e32 v52, v54, v52
	v_fmamk_f32 v54, v113, 0x3dbcf732, v231
	v_add_f32_e32 v70, v75, v70
	v_mul_lo_u16 v75, v102, 17
	v_add_f32_e32 v72, v230, v72
	v_add_f32_e32 v71, v74, v71
	;; [unrolled: 1-line block ×3, first 2 shown]
	v_fmamk_f32 v54, v132, 0xbf2c7751, v232
	v_fmac_f32_e32 v232, 0x3f2c7751, v132
	v_fma_f32 v74, 0xbf7ba420, v131, -v214
	v_and_b32_e32 v75, 0xffff, v75
	v_add_f32_e32 v70, v76, v70
	v_add_f32_e32 v52, v54, v52
	v_fmamk_f32 v54, v115, 0xbf1a4643, v233
	v_add_f32_e32 v72, v232, v72
	v_add_f32_e32 v74, v74, v71
	v_lshl_add_u32 v75, v75, 3, v103
	v_add_f32_e32 v53, v54, v53
	v_fmamk_f32 v54, v119, 0x3f6eb680, v234
	v_add_f32_e32 v53, v54, v53
	v_fmamk_f32 v54, v124, 0xbf7ba420, v235
	;; [unrolled: 2-line block ×4, first 2 shown]
	v_fmac_f32_e32 v237, 0xbf763a35, v140
	v_add_f32_e32 v53, v53, v52
	v_fmamk_f32 v52, v138, 0xbe8c1d8e, v238
	v_add_f32_e32 v71, v237, v72
	v_add_f32_e32 v72, v77, v74
	;; [unrolled: 1-line block ×3, first 2 shown]
	v_fmamk_f32 v54, v111, 0x3f4c4adb, v156
	v_fmac_f32_e32 v156, 0xbf4c4adb, v111
	v_add_f32_e32 v54, v92, v54
	v_add_f32_e32 v73, v92, v156
	;; [unrolled: 1-line block ×3, first 2 shown]
	v_fmamk_f32 v55, v114, 0x3eb8f4ab, v179
	v_add_f32_e32 v73, v168, v73
	v_fmac_f32_e32 v179, 0xbeb8f4ab, v114
	v_add_f32_e32 v54, v55, v54
	v_fmamk_f32 v55, v116, 0x3f06c442, v192
	v_add_f32_e32 v73, v179, v73
	v_fmac_f32_e32 v192, 0xbf06c442, v116
	v_add_f32_e32 v54, v55, v54
	;; [unrolled: 4-line block ×3, first 2 shown]
	v_fmamk_f32 v55, v109, 0xbf1a4643, v154
	v_add_f32_e32 v73, v201, v73
	v_add_f32_e32 v55, v91, v55
	;; [unrolled: 1-line block ×3, first 2 shown]
	v_fmamk_f32 v58, v126, 0x3f2c7751, v210
	v_fmac_f32_e32 v210, 0xbf2c7751, v126
	v_add_f32_e32 v54, v58, v54
	v_fmamk_f32 v58, v113, 0x3f6eb680, v175
	v_add_f32_e32 v73, v210, v73
	v_add_f32_e32 v55, v58, v55
	v_fmamk_f32 v58, v115, 0xbf59a7d5, v190
	v_add_f32_e32 v55, v58, v55
	v_fmamk_f32 v58, v119, 0x3dbcf732, v200
	;; [unrolled: 2-line block ×3, first 2 shown]
	v_fmac_f32_e32 v216, 0xbe3c28d5, v132
	v_add_f32_e32 v54, v58, v54
	v_fmamk_f32 v58, v124, 0x3f3d2fb0, v208
	v_add_f32_e32 v73, v216, v73
	v_add_f32_e32 v55, v58, v55
	v_fmamk_f32 v58, v131, 0xbf7ba420, v214
	v_add_f32_e32 v58, v58, v55
	v_fmamk_f32 v55, v140, 0xbf65296c, v220
	v_fmac_f32_e32 v220, 0x3f65296c, v140
	v_add_f32_e32 v55, v55, v54
	v_fmamk_f32 v54, v138, 0x3ee437d1, v219
	v_add_f32_e32 v73, v220, v73
	v_add_f32_e32 v54, v54, v58
	v_mul_f32_e32 v58, 0xbf763a35, v111
	v_sub_f32_e32 v58, v157, v58
	v_add_f32_e32 v58, v92, v58
	v_add_f32_e32 v58, v59, v58
	v_mul_f32_e32 v59, 0x3f2c7751, v114
	v_sub_f32_e32 v59, v182, v59
	v_add_f32_e32 v58, v59, v58
	v_mul_f32_e32 v59, 0xbe8c1d8e, v109
	v_add_f32_e32 v58, v60, v58
	v_add_f32_e32 v59, v59, v152
	v_mul_f32_e32 v60, 0xbe3c28d5, v120
	v_add_f32_e32 v59, v91, v59
	v_sub_f32_e32 v60, v202, v60
	v_add_f32_e32 v59, v61, v59
	v_mul_f32_e32 v61, 0x3f3d2fb0, v113
	v_add_f32_e32 v58, v60, v58
	v_mul_f32_e32 v60, 0x3f7ee86f, v126
	v_add_f32_e32 v61, v61, v176
	v_sub_f32_e32 v60, v209, v60
	v_add_f32_e32 v59, v61, v59
	v_mul_f32_e32 v61, 0x3ee437d1, v115
	v_add_f32_e32 v58, v60, v58
	v_mul_f32_e32 v60, 0xbf7ba420, v119
	v_add_f32_e32 v61, v61, v188
	v_add_f32_e32 v60, v60, v197
	;; [unrolled: 1-line block ×3, first 2 shown]
	v_mul_f32_e32 v61, 0xbeb8f4ab, v132
	v_add_f32_e32 v59, v60, v59
	v_mul_f32_e32 v60, 0x3dbcf732, v124
	v_sub_f32_e32 v61, v215, v61
	v_add_f32_e32 v60, v60, v206
	v_add_f32_e32 v58, v61, v58
	v_mul_f32_e32 v61, 0xbf4c4adb, v140
	v_add_f32_e32 v59, v60, v59
	v_mul_f32_e32 v60, 0x3f6eb680, v131
	v_sub_f32_e32 v61, v218, v61
	v_add_f32_e32 v60, v60, v213
	v_add_f32_e32 v60, v60, v59
	v_mul_f32_e32 v59, 0xbf1a4643, v138
	v_add_f32_e32 v62, v59, v217
	v_add_f32_e32 v59, v61, v58
	v_mul_f32_e32 v61, 0xbe3c28d5, v112
	v_add_f32_e32 v58, v62, v60
	v_mul_f32_e32 v60, 0xbf7ee86f, v111
	v_sub_f32_e32 v61, v153, v61
	v_mul_f32_e32 v62, 0x3dbcf732, v109
	v_sub_f32_e32 v60, v144, v60
	v_add_f32_e32 v62, v62, v142
	v_add_f32_e32 v60, v92, v60
	;; [unrolled: 1-line block ×4, first 2 shown]
	v_mul_f32_e32 v61, 0x3f763a35, v114
	v_add_f32_e32 v62, v63, v62
	v_mul_f32_e32 v63, 0xbe8c1d8e, v113
	v_sub_f32_e32 v61, v164, v61
	v_add_f32_e32 v63, v63, v162
	v_add_f32_e32 v60, v61, v60
	v_mul_f32_e32 v61, 0x3eb8f4ab, v116
	v_add_f32_e32 v62, v63, v62
	v_mul_f32_e32 v63, 0x3f6eb680, v115
	v_sub_f32_e32 v61, v177, v61
	v_add_f32_e32 v63, v63, v174
	v_add_f32_e32 v60, v61, v60
	v_mul_f32_e32 v61, 0xbf65296c, v120
	v_add_f32_e32 v62, v63, v62
	v_mul_f32_e32 v63, 0x3ee437d1, v119
	v_sub_f32_e32 v61, v189, v61
	v_add_f32_e32 v63, v63, v186
	v_add_f32_e32 v60, v61, v60
	v_mul_f32_e32 v61, 0xbf06c442, v126
	v_add_f32_e32 v62, v63, v62
	v_mul_f32_e32 v63, 0xbf59a7d5, v124
	v_sub_f32_e32 v61, v199, v61
	v_add_f32_e32 v63, v63, v196
	v_add_f32_e32 v60, v61, v60
	v_mul_f32_e32 v61, 0x3f4c4adb, v132
	v_sub_f32_e32 v61, v207, v61
	v_add_f32_e32 v60, v61, v60
	v_add_f32_e32 v61, v63, v62
	v_mul_f32_e32 v62, 0xbf1a4643, v131
	v_mul_f32_e32 v63, 0x3f2c7751, v140
	v_add_f32_e32 v62, v62, v204
	v_sub_f32_e32 v63, v212, v63
	v_add_f32_e32 v62, v62, v61
	v_mul_f32_e32 v61, 0x3f3d2fb0, v138
	v_add_f32_e32 v64, v61, v211
	v_add_f32_e32 v61, v63, v60
	v_mul_f32_e32 v63, 0xbf4c4adb, v112
	v_add_f32_e32 v60, v64, v62
	v_mul_f32_e32 v62, 0xbf65296c, v111
	v_sub_f32_e32 v63, v143, v63
	v_mul_f32_e32 v64, 0xbf1a4643, v110
	v_sub_f32_e32 v62, v133, v62
	v_add_f32_e32 v64, v64, v139
	v_add_f32_e32 v62, v92, v62
	;; [unrolled: 1-line block ×3, first 2 shown]
	v_mul_f32_e32 v63, 0x3e3c28d5, v114
	v_sub_f32_e32 v63, v151, v63
	v_add_f32_e32 v62, v63, v62
	v_mul_f32_e32 v63, 0x3f763a35, v116
	v_sub_f32_e32 v63, v163, v63
	v_add_f32_e32 v62, v63, v62
	;; [unrolled: 3-line block ×3, first 2 shown]
	v_mul_f32_e32 v63, 0x3ee437d1, v109
	v_add_f32_e32 v62, v65, v62
	v_add_f32_e32 v63, v63, v128
	v_mul_f32_e32 v65, 0xbf7ee86f, v132
	v_add_f32_e32 v63, v91, v63
	v_sub_f32_e32 v65, v198, v65
	v_add_f32_e32 v63, v64, v63
	v_mul_f32_e32 v64, 0xbf7ba420, v113
	v_add_f32_e32 v62, v65, v62
	v_mul_f32_e32 v65, 0xbf06c442, v140
	v_add_f32_e32 v64, v64, v148
	v_sub_f32_e32 v65, v205, v65
	v_add_f32_e32 v63, v64, v63
	v_mul_f32_e32 v64, 0xbe8c1d8e, v115
	v_add_f32_e32 v64, v64, v160
	v_add_f32_e32 v63, v64, v63
	v_mul_f32_e32 v64, 0x3f3d2fb0, v119
	v_add_f32_e32 v64, v64, v173
	;; [unrolled: 3-line block ×6, first 2 shown]
	v_mul_f32_e32 v64, 0xbf2c7751, v111
	v_mul_f32_e32 v66, 0xbf7ee86f, v112
	v_add_f32_e32 v65, v65, v123
	v_sub_f32_e32 v64, v125, v64
	v_sub_f32_e32 v66, v134, v66
	v_add_f32_e32 v65, v91, v65
	v_add_f32_e32 v64, v92, v64
	;; [unrolled: 1-line block ×3, first 2 shown]
	v_mul_f32_e32 v67, 0xbf1a4643, v113
	v_add_f32_e32 v64, v66, v64
	v_mul_f32_e32 v66, 0xbf4c4adb, v114
	v_add_f32_e32 v67, v67, v136
	v_sub_f32_e32 v66, v141, v66
	v_add_f32_e32 v65, v67, v65
	v_mul_f32_e32 v67, 0xbf7ba420, v115
	v_add_f32_e32 v64, v66, v64
	v_mul_f32_e32 v66, 0xbe3c28d5, v116
	v_add_f32_e32 v67, v67, v146
	v_sub_f32_e32 v66, v149, v66
	v_add_f32_e32 v65, v67, v65
	;; [unrolled: 6-line block ×6, first 2 shown]
	v_mul_f32_e32 v66, 0xbeb8f4ab, v111
	v_add_f32_e32 v64, v123, v67
	v_mul_f32_e32 v67, 0xbf2c7751, v112
	v_sub_f32_e32 v66, v118, v66
	v_mul_f32_e32 v118, 0x3f6eb680, v109
	v_sub_f32_e32 v67, v122, v67
	v_add_f32_e32 v66, v92, v66
	v_add_f32_e32 v117, v118, v117
	v_mul_f32_e32 v118, 0x3f3d2fb0, v110
	v_add_f32_e32 v66, v67, v66
	v_mul_f32_e32 v67, 0xbf65296c, v114
	v_add_f32_e32 v118, v118, v121
	v_add_f32_e32 v117, v91, v117
	v_sub_f32_e32 v67, v129, v67
	v_add_f32_e32 v117, v118, v117
	v_mul_f32_e32 v118, 0x3ee437d1, v113
	v_add_f32_e32 v66, v67, v66
	v_mul_f32_e32 v67, 0xbf7ee86f, v116
	v_add_f32_e32 v118, v118, v127
	v_sub_f32_e32 v67, v137, v67
	v_add_f32_e32 v117, v118, v117
	v_mul_f32_e32 v118, 0x3dbcf732, v115
	v_add_f32_e32 v66, v67, v66
	v_mul_f32_e32 v67, 0xbf763a35, v120
	;; [unrolled: 6-line block ×4, first 2 shown]
	v_add_f32_e32 v118, v118, v155
	v_sub_f32_e32 v67, v171, v67
	v_add_f32_e32 v66, v67, v66
	v_add_f32_e32 v67, v118, v117
	v_mul_f32_e32 v117, 0xbf59a7d5, v131
	v_mul_f32_e32 v118, 0xbe3c28d5, v140
	v_add_f32_e32 v117, v117, v167
	v_sub_f32_e32 v118, v181, v118
	v_add_f32_e32 v117, v117, v67
	v_mul_f32_e32 v67, 0xbf7ba420, v138
	v_add_f32_e32 v121, v67, v180
	v_add_f32_e32 v67, v118, v66
	;; [unrolled: 1-line block ×3, first 2 shown]
	ds_write2_b64 v75, v[48:49], v[66:67] offset1:1
	ds_write2_b64 v75, v[64:65], v[62:63] offset0:2 offset1:3
	ds_write2_b64 v75, v[60:61], v[58:59] offset0:4 offset1:5
	;; [unrolled: 1-line block ×7, first 2 shown]
	ds_write_b64 v75, v[56:57] offset:128
.LBB0_17:
	s_or_b32 exec_lo, exec_lo, s1
	v_add_nc_u32_e32 v52, 0x400, v104
	v_add_nc_u32_e32 v53, 0xc00, v104
	;; [unrolled: 1-line block ×5, first 2 shown]
	s_waitcnt lgkmcnt(0)
	s_barrier
	buffer_gl0_inv
	ds_read2_b64 v[48:51], v104 offset1:102
	ds_read2_b64 v[74:77], v52 offset0:93 offset1:195
	ds_read2_b64 v[70:73], v53 offset0:58 offset1:160
	;; [unrolled: 1-line block ×5, first 2 shown]
	s_and_saveexec_b32 s1, s0
	s_cbranch_execz .LBB0_19
; %bb.18:
	v_add_nc_u32_e32 v52, 0xd00, v104
	v_add_nc_u32_e32 v53, 0x1b00, v104
	ds_read2_b64 v[78:81], v52 offset0:9 offset1:230
	ds_read2_b64 v[54:57], v53 offset0:3 offset1:224
	ds_read_b64 v[93:94], v104 offset:1632
	ds_read_b64 v[89:90], v104 offset:10472
	s_waitcnt lgkmcnt(3)
	v_mov_b32_e32 v99, v78
	v_mov_b32_e32 v100, v79
	;; [unrolled: 1-line block ×4, first 2 shown]
	s_waitcnt lgkmcnt(2)
	v_mov_b32_e32 v97, v54
	v_mov_b32_e32 v98, v55
.LBB0_19:
	s_or_b32 exec_lo, exec_lo, s1
	s_waitcnt lgkmcnt(4)
	v_mul_f32_e32 v52, v21, v75
	v_mul_f32_e32 v21, v21, v74
	s_waitcnt lgkmcnt(3)
	v_mul_f32_e32 v53, v23, v71
	v_mul_f32_e32 v23, v23, v70
	s_waitcnt lgkmcnt(0)
	v_mul_f32_e32 v54, v88, v58
	v_fmac_f32_e32 v52, v20, v74
	v_fma_f32 v20, v20, v75, -v21
	v_mul_f32_e32 v21, v17, v67
	v_fmac_f32_e32 v53, v22, v70
	v_mul_f32_e32 v17, v17, v66
	v_fma_f32 v22, v22, v71, -v23
	v_mul_f32_e32 v23, v19, v63
	v_mul_f32_e32 v19, v19, v62
	v_fmac_f32_e32 v21, v16, v66
	v_fma_f32 v16, v16, v67, -v17
	v_mul_f32_e32 v17, v88, v59
	v_fmac_f32_e32 v23, v18, v62
	v_fma_f32 v18, v18, v63, -v19
	v_fma_f32 v19, v87, v59, -v54
	v_mul_f32_e32 v59, v9, v69
	v_mul_f32_e32 v9, v9, v68
	;; [unrolled: 1-line block ×5, first 2 shown]
	v_fmac_f32_e32 v59, v8, v68
	v_mul_f32_e32 v11, v11, v64
	v_fma_f32 v66, v8, v69, -v9
	v_mul_f32_e32 v67, v86, v61
	v_mul_f32_e32 v8, v86, v60
	v_add_f32_e32 v9, v53, v23
	v_fma_f32 v62, v14, v73, -v15
	v_fmac_f32_e32 v63, v10, v64
	v_fma_f32 v64, v10, v65, -v11
	v_fmac_f32_e32 v67, v85, v60
	v_add_f32_e32 v10, v48, v53
	v_fma_f32 v60, v85, v61, -v8
	v_add_f32_e32 v8, v22, v18
	v_fma_f32 v15, -0.5, v9, v48
	v_sub_f32_e32 v9, v22, v18
	v_fmac_f32_e32 v17, v87, v58
	v_fmac_f32_e32 v54, v14, v72
	v_add_f32_e32 v14, v10, v23
	v_add_f32_e32 v10, v49, v22
	v_fma_f32 v22, -0.5, v8, v49
	v_sub_f32_e32 v8, v53, v23
	v_fmamk_f32 v23, v9, 0xbf5db3d7, v15
	v_fmac_f32_e32 v15, 0x3f5db3d7, v9
	v_add_f32_e32 v9, v16, v19
	v_mul_f32_e32 v55, v13, v77
	v_mul_f32_e32 v13, v13, v76
	v_add_f32_e32 v48, v10, v18
	v_add_f32_e32 v10, v21, v17
	;; [unrolled: 1-line block ×3, first 2 shown]
	v_fmac_f32_e32 v20, -0.5, v9
	v_sub_f32_e32 v9, v21, v17
	v_fmac_f32_e32 v55, v12, v76
	v_fma_f32 v58, v12, v77, -v13
	v_fmamk_f32 v49, v8, 0x3f5db3d7, v22
	v_add_f32_e32 v12, v52, v21
	v_fmac_f32_e32 v52, -0.5, v10
	v_sub_f32_e32 v10, v16, v19
	v_fmac_f32_e32 v22, 0xbf5db3d7, v8
	v_fmamk_f32 v8, v9, 0x3f5db3d7, v20
	v_fmac_f32_e32 v20, 0xbf5db3d7, v9
	v_add_f32_e32 v16, v12, v17
	v_fmamk_f32 v9, v10, 0xbf5db3d7, v52
	v_fmac_f32_e32 v52, 0x3f5db3d7, v10
	v_mul_f32_e32 v17, 0xbf5db3d7, v8
	v_mul_f32_e32 v18, 0xbf5db3d7, v20
	v_mul_f32_e32 v21, 0.5, v8
	v_mul_f32_e32 v20, -0.5, v20
	v_add_f32_e32 v19, v11, v19
	v_fmac_f32_e32 v17, 0.5, v9
	v_fmac_f32_e32 v18, -0.5, v52
	v_add_f32_e32 v8, v14, v16
	v_fmac_f32_e32 v21, 0x3f5db3d7, v9
	v_fmac_f32_e32 v20, 0x3f5db3d7, v52
	v_add_f32_e32 v10, v23, v17
	v_sub_f32_e32 v14, v14, v16
	v_sub_f32_e32 v16, v23, v17
	v_add_f32_e32 v23, v54, v63
	v_add_f32_e32 v12, v15, v18
	;; [unrolled: 1-line block ×5, first 2 shown]
	v_sub_f32_e32 v18, v15, v18
	v_sub_f32_e32 v15, v48, v19
	;; [unrolled: 1-line block ×3, first 2 shown]
	v_add_f32_e32 v21, v50, v54
	v_sub_f32_e32 v19, v22, v20
	v_fma_f32 v50, -0.5, v23, v50
	v_sub_f32_e32 v22, v62, v64
	v_add_f32_e32 v20, v62, v64
	v_add_f32_e32 v52, v21, v63
	;; [unrolled: 1-line block ×4, first 2 shown]
	v_fmamk_f32 v53, v22, 0xbf5db3d7, v50
	v_fmac_f32_e32 v50, 0x3f5db3d7, v22
	v_add_f32_e32 v22, v66, v60
	v_fmac_f32_e32 v51, -0.5, v20
	v_sub_f32_e32 v20, v54, v63
	v_add_f32_e32 v61, v21, v64
	v_add_f32_e32 v21, v59, v67
	v_fmac_f32_e32 v58, -0.5, v22
	v_sub_f32_e32 v22, v59, v67
	v_fmamk_f32 v62, v20, 0x3f5db3d7, v51
	v_add_f32_e32 v48, v55, v59
	v_fmac_f32_e32 v55, -0.5, v21
	v_sub_f32_e32 v21, v66, v60
	v_fmac_f32_e32 v51, 0xbf5db3d7, v20
	v_fmamk_f32 v20, v22, 0x3f5db3d7, v58
	v_fmac_f32_e32 v58, 0xbf5db3d7, v22
	v_add_f32_e32 v54, v48, v67
	v_fmamk_f32 v22, v21, 0xbf5db3d7, v55
	v_fmac_f32_e32 v55, 0x3f5db3d7, v21
	v_mul_f32_e32 v59, 0xbf5db3d7, v20
	v_mul_f32_e32 v64, 0.5, v20
	v_mul_f32_e32 v63, 0xbf5db3d7, v58
	v_mul_f32_e32 v58, -0.5, v58
	v_add_f32_e32 v60, v23, v60
	v_fmac_f32_e32 v59, 0.5, v22
	v_fmac_f32_e32 v64, 0x3f5db3d7, v22
	v_fmac_f32_e32 v63, -0.5, v55
	v_fmac_f32_e32 v58, 0x3f5db3d7, v55
	v_add_f32_e32 v20, v52, v54
	v_add_f32_e32 v22, v53, v59
	;; [unrolled: 1-line block ×6, first 2 shown]
	v_sub_f32_e32 v52, v52, v54
	v_sub_f32_e32 v54, v53, v59
	;; [unrolled: 1-line block ×6, first 2 shown]
	s_barrier
	buffer_gl0_inv
	ds_write2_b64 v108, v[8:9], v[10:11] offset1:17
	ds_write2_b64 v108, v[12:13], v[14:15] offset0:34 offset1:51
	ds_write2_b64 v108, v[16:17], v[18:19] offset0:68 offset1:85
	ds_write2_b64 v107, v[20:21], v[22:23] offset1:17
	ds_write2_b64 v107, v[48:49], v[52:53] offset0:34 offset1:51
	ds_write2_b64 v107, v[54:55], v[50:51] offset0:68 offset1:85
	s_and_saveexec_b32 s1, s0
	s_cbranch_execz .LBB0_21
; %bb.20:
	v_mul_f32_e32 v8, v3, v95
	v_mul_f32_e32 v9, v7, v56
	;; [unrolled: 1-line block ×6, first 2 shown]
	v_fma_f32 v8, v2, v96, -v8
	v_fma_f32 v9, v6, v57, -v9
	v_mul_f32_e32 v13, v1, v99
	v_fma_f32 v5, v4, v98, -v5
	v_fma_f32 v11, v83, v90, -v11
	v_mul_f32_e32 v15, v1, v100
	v_fmac_f32_e32 v10, v4, v97
	v_fmac_f32_e32 v12, v83, v89
	v_mul_f32_e32 v3, v3, v96
	v_mul_f32_e32 v7, v7, v57
	v_add_f32_e32 v14, v8, v9
	v_fma_f32 v4, v0, v100, -v13
	v_add_f32_e32 v1, v5, v11
	v_fmac_f32_e32 v15, v0, v99
	v_add_f32_e32 v0, v10, v12
	v_fmac_f32_e32 v3, v2, v95
	v_fmac_f32_e32 v7, v6, v56
	v_fma_f32 v13, -0.5, v1, v4
	v_sub_f32_e32 v1, v10, v12
	v_fma_f32 v0, -0.5, v0, v15
	v_sub_f32_e32 v2, v5, v11
	;; [unrolled: 2-line block ×3, first 2 shown]
	v_fmamk_f32 v6, v1, 0xbf5db3d7, v13
	v_fmac_f32_e32 v13, 0x3f5db3d7, v1
	v_fmamk_f32 v17, v2, 0x3f5db3d7, v0
	v_fmac_f32_e32 v0, 0xbf5db3d7, v2
	;; [unrolled: 2-line block ×3, first 2 shown]
	v_add_f32_e32 v16, v3, v7
	v_add_f32_e32 v2, v94, v8
	v_mul_f32_e32 v20, 0.5, v13
	v_add_f32_e32 v4, v4, v5
	v_sub_f32_e32 v5, v8, v9
	v_fma_f32 v16, -0.5, v16, v93
	v_add_f32_e32 v8, v2, v9
	v_mul_f32_e32 v13, 0xbf5db3d7, v13
	v_add_f32_e32 v2, v93, v3
	v_add_f32_e32 v3, v15, v10
	v_mul_f32_e32 v18, -0.5, v6
	v_mul_f32_e32 v6, 0xbf5db3d7, v6
	v_fmac_f32_e32 v20, 0x3f5db3d7, v0
	v_add_f32_e32 v11, v4, v11
	v_fmamk_f32 v21, v5, 0x3f5db3d7, v16
	v_fmac_f32_e32 v16, 0xbf5db3d7, v5
	v_fmac_f32_e32 v13, 0.5, v0
	v_add_f32_e32 v10, v2, v7
	v_add_f32_e32 v12, v3, v12
	v_lshl_add_u32 v15, v106, 3, v103
	v_fmac_f32_e32 v18, 0x3f5db3d7, v17
	v_fmac_f32_e32 v6, -0.5, v17
	v_sub_f32_e32 v5, v8, v11
	v_sub_f32_e32 v4, v10, v12
	v_add_f32_e32 v9, v14, v20
	v_add_f32_e32 v11, v8, v11
	;; [unrolled: 1-line block ×4, first 2 shown]
	v_add_nc_u32_e32 v12, 0x2000, v15
	v_sub_f32_e32 v0, v21, v6
	v_add_f32_e32 v7, v19, v18
	v_add_f32_e32 v6, v21, v6
	v_sub_f32_e32 v1, v19, v18
	v_sub_f32_e32 v3, v14, v20
	v_sub_f32_e32 v2, v16, v13
	v_add_nc_u32_e32 v13, 0x2800, v15
	ds_write2_b64 v12, v[10:11], v[8:9] offset0:200 offset1:217
	ds_write2_b64 v12, v[6:7], v[4:5] offset0:234 offset1:251
	;; [unrolled: 1-line block ×3, first 2 shown]
.LBB0_21:
	s_or_b32 exec_lo, exec_lo, s1
	s_waitcnt lgkmcnt(0)
	s_barrier
	buffer_gl0_inv
	ds_read2_b64 v[8:11], v104 offset1:102
	v_add_nc_u32_e32 v0, 0x400, v104
	v_add_nc_u32_e32 v4, 0x800, v104
	ds_read2_b64 v[0:3], v0 offset0:76 offset1:178
	ds_read2_b64 v[12:15], v4 offset0:152 offset1:254
	v_add_nc_u32_e32 v4, 0x1000, v104
	v_add_nc_u32_e32 v5, 0x1800, v104
	;; [unrolled: 1-line block ×3, first 2 shown]
	ds_read_b64 v[52:53], v104 offset:9792
	ds_read2_b64 v[16:19], v4 offset0:100 offset1:202
	ds_read2_b64 v[20:23], v5 offset0:48 offset1:150
	;; [unrolled: 1-line block ×3, first 2 shown]
	s_waitcnt lgkmcnt(6)
	v_mul_f32_e32 v54, v45, v11
	v_mul_f32_e32 v7, v45, v10
	v_fmac_f32_e32 v54, v44, v10
	v_fma_f32 v10, v44, v11, -v7
	s_waitcnt lgkmcnt(5)
	v_mul_f32_e32 v11, v47, v1
	v_mul_f32_e32 v4, v47, v0
	;; [unrolled: 1-line block ×4, first 2 shown]
	s_waitcnt lgkmcnt(4)
	v_mul_f32_e32 v41, v43, v13
	v_mul_f32_e32 v7, v43, v12
	v_fmac_f32_e32 v11, v46, v0
	v_fma_f32 v43, v46, v1, -v4
	v_fmac_f32_e32 v44, v40, v2
	v_fma_f32 v40, v40, v3, -v5
	s_waitcnt lgkmcnt(2)
	v_mul_f32_e32 v0, v35, v16
	v_add_f32_e32 v1, v8, v54
	v_add_f32_e32 v5, v9, v10
	v_mul_f32_e32 v6, v33, v15
	v_mul_f32_e32 v33, v33, v14
	v_fma_f32 v4, v34, v17, -v0
	v_add_f32_e32 v0, v1, v11
	v_add_f32_e32 v1, v5, v43
	v_fmac_f32_e32 v41, v42, v12
	v_fma_f32 v12, v42, v13, -v7
	v_fma_f32 v7, v32, v15, -v33
	v_add_f32_e32 v0, v0, v44
	v_add_f32_e32 v1, v1, v40
	v_fmac_f32_e32 v6, v32, v14
	v_mul_f32_e32 v2, v35, v17
	v_mul_f32_e32 v5, v25, v18
	v_add_f32_e32 v0, v0, v41
	v_add_f32_e32 v1, v1, v12
	v_mul_f32_e32 v3, v25, v19
	v_fmac_f32_e32 v2, v34, v16
	s_waitcnt lgkmcnt(1)
	v_mul_f32_e32 v13, v27, v21
	v_fma_f32 v5, v24, v19, -v5
	v_add_f32_e32 v1, v1, v7
	v_mul_f32_e32 v14, v27, v20
	v_add_f32_e32 v0, v0, v6
	v_fmac_f32_e32 v3, v24, v18
	v_fmac_f32_e32 v13, v26, v20
	v_add_f32_e32 v1, v1, v4
	v_fma_f32 v14, v26, v21, -v14
	v_mul_f32_e32 v16, v37, v22
	v_add_f32_e32 v0, v0, v2
	v_mul_f32_e32 v20, v31, v52
	v_add_f32_e32 v1, v1, v5
	v_mul_f32_e32 v15, v37, v23
	v_fma_f32 v16, v36, v23, -v16
	s_waitcnt lgkmcnt(0)
	v_mul_f32_e32 v18, v39, v48
	v_add_f32_e32 v0, v0, v3
	v_add_f32_e32 v1, v1, v14
	v_mul_f32_e32 v21, v31, v53
	v_fma_f32 v20, v30, v53, -v20
	v_fmac_f32_e32 v15, v36, v22
	v_mul_f32_e32 v17, v39, v49
	v_fma_f32 v18, v38, v49, -v18
	v_add_f32_e32 v0, v0, v13
	v_mul_f32_e32 v22, v29, v50
	v_add_f32_e32 v1, v1, v16
	v_fmac_f32_e32 v21, v30, v52
	v_sub_f32_e32 v23, v10, v20
	v_fmac_f32_e32 v17, v38, v48
	v_mul_f32_e32 v19, v29, v51
	v_add_f32_e32 v0, v0, v15
	v_fma_f32 v22, v28, v51, -v22
	v_add_f32_e32 v1, v1, v18
	v_add_f32_e32 v24, v54, v21
	v_mul_f32_e32 v25, 0xbeedf032, v23
	v_fmac_f32_e32 v19, v28, v50
	v_add_f32_e32 v0, v0, v17
	v_add_f32_e32 v10, v10, v20
	;; [unrolled: 1-line block ×3, first 2 shown]
	v_fmamk_f32 v27, v24, 0x3f62ad3f, v25
	v_sub_f32_e32 v49, v43, v22
	v_add_f32_e32 v0, v0, v19
	v_sub_f32_e32 v26, v54, v21
	v_mul_f32_e32 v28, 0x3f62ad3f, v10
	v_add_f32_e32 v1, v1, v20
	v_add_f32_e32 v20, v8, v27
	v_mul_f32_e32 v27, 0xbf52af12, v23
	v_mul_f32_e32 v29, 0x3f116cb1, v10
	;; [unrolled: 1-line block ×10, first 2 shown]
	v_add_f32_e32 v51, v11, v19
	v_mul_f32_e32 v52, 0xbf52af12, v49
	v_add_f32_e32 v22, v43, v22
	v_add_f32_e32 v0, v0, v21
	v_fmamk_f32 v21, v26, 0x3eedf032, v28
	v_fma_f32 v25, 0x3f62ad3f, v24, -v25
	v_fmac_f32_e32 v28, 0xbeedf032, v26
	v_fmamk_f32 v30, v24, 0x3f116cb1, v27
	v_fmamk_f32 v31, v26, 0x3f52af12, v29
	v_fma_f32 v27, 0x3f116cb1, v24, -v27
	v_fmac_f32_e32 v29, 0xbf52af12, v26
	v_fmamk_f32 v33, v24, 0x3df6dbef, v32
	;; [unrolled: 4-line block ×5, first 2 shown]
	v_fmamk_f32 v50, v26, 0x3e750f2a, v10
	v_fma_f32 v23, 0xbf788fa5, v24, -v23
	v_fmac_f32_e32 v10, 0xbe750f2a, v26
	v_sub_f32_e32 v11, v11, v19
	v_fmamk_f32 v19, v51, 0x3f116cb1, v52
	v_mul_f32_e32 v24, 0x3f116cb1, v22
	v_add_f32_e32 v21, v9, v21
	v_add_f32_e32 v25, v8, v25
	;; [unrolled: 1-line block ×24, first 2 shown]
	v_fmamk_f32 v19, v11, 0x3f52af12, v24
	v_mul_f32_e32 v20, 0xbf6f5d39, v49
	v_fma_f32 v23, 0x3f116cb1, v51, -v52
	v_fmac_f32_e32 v24, 0xbf52af12, v11
	v_mul_f32_e32 v43, 0xbeb58ec6, v22
	v_add_f32_e32 v19, v19, v21
	v_fmamk_f32 v21, v51, 0xbeb58ec6, v20
	v_add_f32_e32 v23, v23, v25
	v_add_f32_e32 v24, v24, v28
	v_fmamk_f32 v25, v11, 0x3f6f5d39, v43
	v_mul_f32_e32 v28, 0xbe750f2a, v49
	v_add_f32_e32 v21, v21, v30
	v_fma_f32 v20, 0xbeb58ec6, v51, -v20
	v_fmac_f32_e32 v43, 0xbf6f5d39, v11
	v_add_f32_e32 v25, v25, v31
	v_fmamk_f32 v30, v51, 0xbf788fa5, v28
	v_mul_f32_e32 v31, 0xbf788fa5, v22
	v_add_f32_e32 v20, v20, v27
	v_add_f32_e32 v27, v43, v29
	v_mul_f32_e32 v29, 0x3f29c268, v49
	v_add_f32_e32 v30, v30, v33
	v_fmamk_f32 v33, v11, 0x3e750f2a, v31
	v_fmac_f32_e32 v31, 0xbe750f2a, v11
	v_mul_f32_e32 v50, 0xbf3f9e67, v22
	v_fma_f32 v28, 0xbf788fa5, v51, -v28
	v_fmamk_f32 v43, v51, 0xbf3f9e67, v29
	v_add_f32_e32 v33, v33, v36
	v_add_f32_e32 v31, v31, v34
	v_fmamk_f32 v34, v11, 0xbf29c268, v50
	v_mul_f32_e32 v36, 0x3f7e222b, v49
	v_add_f32_e32 v28, v28, v32
	v_add_f32_e32 v32, v43, v37
	v_fma_f32 v29, 0xbf3f9e67, v51, -v29
	v_mul_f32_e32 v37, 0x3df6dbef, v22
	v_add_f32_e32 v34, v34, v39
	v_fmamk_f32 v39, v51, 0x3df6dbef, v36
	v_mul_f32_e32 v43, 0x3eedf032, v49
	v_fma_f32 v36, 0x3df6dbef, v51, -v36
	v_add_f32_e32 v29, v29, v35
	v_fmamk_f32 v35, v11, 0xbf7e222b, v37
	v_add_f32_e32 v39, v39, v46
	v_fmac_f32_e32 v37, 0x3f7e222b, v11
	v_fmamk_f32 v46, v51, 0x3f62ad3f, v43
	v_add_f32_e32 v36, v36, v42
	v_sub_f32_e32 v42, v40, v18
	v_add_f32_e32 v35, v35, v47
	v_mul_f32_e32 v22, 0x3f62ad3f, v22
	v_add_f32_e32 v37, v37, v45
	v_add_f32_e32 v45, v46, v48
	;; [unrolled: 1-line block ×3, first 2 shown]
	v_mul_f32_e32 v48, 0xbf7e222b, v42
	v_add_f32_e32 v18, v40, v18
	v_fmac_f32_e32 v50, 0x3f29c268, v11
	v_fmamk_f32 v46, v11, 0xbeedf032, v22
	v_fma_f32 v40, 0x3f62ad3f, v51, -v43
	v_fmac_f32_e32 v22, 0x3eedf032, v11
	v_sub_f32_e32 v11, v44, v17
	v_fmamk_f32 v17, v47, 0x3df6dbef, v48
	v_mul_f32_e32 v43, 0x3df6dbef, v18
	v_add_f32_e32 v8, v40, v8
	v_add_f32_e32 v9, v22, v9
	v_mul_f32_e32 v22, 0xbe750f2a, v42
	v_add_f32_e32 v10, v17, v10
	v_fmamk_f32 v17, v11, 0x3f7e222b, v43
	v_fma_f32 v40, 0x3df6dbef, v47, -v48
	v_fmac_f32_e32 v43, 0xbf7e222b, v11
	v_mul_f32_e32 v44, 0xbf788fa5, v18
	v_add_f32_e32 v26, v46, v26
	v_add_f32_e32 v17, v17, v19
	v_fmamk_f32 v19, v47, 0xbf788fa5, v22
	v_add_f32_e32 v23, v40, v23
	v_add_f32_e32 v24, v43, v24
	v_fmamk_f32 v40, v11, 0x3e750f2a, v44
	v_mul_f32_e32 v43, 0x3f6f5d39, v42
	v_add_f32_e32 v19, v19, v21
	v_fma_f32 v21, 0xbf788fa5, v47, -v22
	v_mul_f32_e32 v46, 0x3f62ad3f, v18
	v_add_f32_e32 v22, v40, v25
	v_fmamk_f32 v25, v47, 0xbeb58ec6, v43
	v_mul_f32_e32 v40, 0xbeb58ec6, v18
	v_fmac_f32_e32 v44, 0xbe750f2a, v11
	v_add_f32_e32 v20, v21, v20
	v_fma_f32 v43, 0xbeb58ec6, v47, -v43
	v_add_f32_e32 v25, v25, v30
	v_fmamk_f32 v30, v11, 0xbf6f5d39, v40
	v_fmac_f32_e32 v40, 0x3f6f5d39, v11
	v_add_f32_e32 v21, v44, v27
	v_mul_f32_e32 v27, 0x3eedf032, v42
	v_add_f32_e32 v28, v43, v28
	v_add_f32_e32 v30, v30, v33
	;; [unrolled: 1-line block ×3, first 2 shown]
	v_fmamk_f32 v33, v11, 0xbeedf032, v46
	v_mul_f32_e32 v40, 0xbf52af12, v42
	v_fmamk_f32 v44, v47, 0x3f62ad3f, v27
	v_fma_f32 v27, 0x3f62ad3f, v47, -v27
	v_mul_f32_e32 v43, 0x3f116cb1, v18
	v_add_f32_e32 v33, v33, v34
	v_fmamk_f32 v34, v47, 0x3f116cb1, v40
	v_add_f32_e32 v32, v44, v32
	v_add_f32_e32 v27, v27, v29
	v_fmamk_f32 v29, v11, 0x3f52af12, v43
	v_fmac_f32_e32 v43, 0xbf52af12, v11
	v_add_f32_e32 v34, v34, v39
	v_fma_f32 v39, 0x3f116cb1, v47, -v40
	v_mul_f32_e32 v42, 0xbf29c268, v42
	v_mul_f32_e32 v18, 0xbf3f9e67, v18
	v_add_f32_e32 v37, v43, v37
	v_add_f32_e32 v43, v41, v15
	;; [unrolled: 1-line block ×3, first 2 shown]
	v_sub_f32_e32 v39, v12, v16
	v_add_f32_e32 v12, v12, v16
	v_fmac_f32_e32 v46, 0x3eedf032, v11
	v_fmamk_f32 v40, v11, 0x3f29c268, v18
	v_fma_f32 v16, 0xbf3f9e67, v47, -v42
	v_mul_f32_e32 v44, 0xbf6f5d39, v39
	v_fmac_f32_e32 v18, 0xbf29c268, v11
	v_sub_f32_e32 v11, v41, v15
	v_mul_f32_e32 v41, 0xbeb58ec6, v12
	v_add_f32_e32 v26, v40, v26
	v_fmamk_f32 v15, v43, 0xbeb58ec6, v44
	v_add_f32_e32 v8, v16, v8
	v_add_f32_e32 v9, v18, v9
	v_mul_f32_e32 v16, 0x3f29c268, v39
	v_fma_f32 v18, 0xbeb58ec6, v43, -v44
	v_add_f32_e32 v10, v15, v10
	v_fmamk_f32 v15, v11, 0x3f6f5d39, v41
	v_fmac_f32_e32 v41, 0xbf6f5d39, v11
	v_mul_f32_e32 v40, 0xbf3f9e67, v12
	v_add_f32_e32 v18, v18, v23
	v_add_f32_e32 v29, v29, v35
	;; [unrolled: 1-line block ×3, first 2 shown]
	v_fmamk_f32 v17, v43, 0xbf3f9e67, v16
	v_add_f32_e32 v23, v41, v24
	v_fmamk_f32 v24, v11, 0xbf29c268, v40
	v_mul_f32_e32 v41, 0x3eedf032, v39
	v_fma_f32 v16, 0xbf3f9e67, v43, -v16
	v_fmac_f32_e32 v40, 0x3f29c268, v11
	v_add_f32_e32 v17, v17, v19
	v_add_f32_e32 v19, v24, v22
	v_fmamk_f32 v22, v43, 0x3f62ad3f, v41
	v_mul_f32_e32 v24, 0x3f62ad3f, v12
	v_add_f32_e32 v16, v16, v20
	v_add_f32_e32 v20, v40, v21
	v_mul_f32_e32 v21, 0xbf7e222b, v39
	v_fmamk_f32 v35, v47, 0xbf3f9e67, v42
	v_add_f32_e32 v22, v22, v25
	v_fmamk_f32 v25, v11, 0xbeedf032, v24
	v_fma_f32 v40, 0x3f62ad3f, v43, -v41
	v_fmac_f32_e32 v24, 0x3eedf032, v11
	v_fmamk_f32 v41, v43, 0x3df6dbef, v21
	v_mul_f32_e32 v42, 0x3df6dbef, v12
	v_add_f32_e32 v25, v25, v30
	v_add_f32_e32 v28, v40, v28
	;; [unrolled: 1-line block ×4, first 2 shown]
	v_fmamk_f32 v31, v11, 0x3f7e222b, v42
	v_mul_f32_e32 v32, 0x3e750f2a, v39
	v_fma_f32 v21, 0x3df6dbef, v43, -v21
	v_mul_f32_e32 v40, 0xbf788fa5, v12
	v_mul_f32_e32 v39, 0x3f52af12, v39
	v_add_f32_e32 v31, v31, v33
	v_fmamk_f32 v33, v43, 0xbf788fa5, v32
	v_add_f32_e32 v21, v21, v27
	v_fmamk_f32 v27, v11, 0xbe750f2a, v40
	v_fma_f32 v32, 0xbf788fa5, v43, -v32
	v_fmac_f32_e32 v40, 0x3e750f2a, v11
	v_add_f32_e32 v33, v33, v34
	v_sub_f32_e32 v34, v7, v14
	v_add_f32_e32 v35, v35, v45
	v_add_f32_e32 v27, v27, v29
	v_fmamk_f32 v29, v43, 0x3f116cb1, v39
	v_mul_f32_e32 v12, 0x3f116cb1, v12
	v_add_f32_e32 v32, v32, v36
	v_add_f32_e32 v36, v40, v37
	;; [unrolled: 1-line block ×3, first 2 shown]
	v_mul_f32_e32 v40, 0xbf29c268, v34
	v_add_f32_e32 v7, v7, v14
	v_fmac_f32_e32 v42, 0xbf7e222b, v11
	v_add_f32_e32 v29, v29, v35
	v_fmamk_f32 v35, v11, 0xbf52af12, v12
	v_fma_f32 v14, 0x3f116cb1, v43, -v39
	v_fmac_f32_e32 v12, 0x3f52af12, v11
	v_sub_f32_e32 v6, v6, v13
	v_fmamk_f32 v11, v37, 0xbf3f9e67, v40
	v_mul_f32_e32 v13, 0xbf3f9e67, v7
	v_add_f32_e32 v26, v35, v26
	v_add_f32_e32 v8, v14, v8
	;; [unrolled: 1-line block ×4, first 2 shown]
	v_fmamk_f32 v11, v6, 0x3f29c268, v13
	v_mul_f32_e32 v12, 0x3f7e222b, v34
	v_fma_f32 v14, 0xbf3f9e67, v37, -v40
	v_fmac_f32_e32 v13, 0xbf29c268, v6
	v_mul_f32_e32 v35, 0x3df6dbef, v7
	v_add_f32_e32 v11, v11, v15
	v_fmamk_f32 v15, v37, 0x3df6dbef, v12
	v_add_f32_e32 v14, v14, v18
	v_add_f32_e32 v13, v13, v23
	v_fmamk_f32 v18, v6, 0xbf7e222b, v35
	v_mul_f32_e32 v23, 0xbf52af12, v34
	v_fma_f32 v12, 0x3df6dbef, v37, -v12
	v_fmac_f32_e32 v35, 0x3f7e222b, v6
	v_add_f32_e32 v15, v15, v17
	v_add_f32_e32 v17, v18, v19
	v_fmamk_f32 v18, v37, 0x3f116cb1, v23
	v_mul_f32_e32 v19, 0x3f116cb1, v7
	v_add_f32_e32 v12, v12, v16
	v_add_f32_e32 v16, v35, v20
	v_mul_f32_e32 v20, 0x3e750f2a, v34
	v_add_f32_e32 v38, v50, v38
	v_add_f32_e32 v18, v18, v22
	v_fmamk_f32 v22, v6, 0x3f52af12, v19
	v_fmac_f32_e32 v19, 0xbf52af12, v6
	v_fmamk_f32 v35, v37, 0xbf788fa5, v20
	v_add_f32_e32 v38, v46, v38
	v_fma_f32 v23, 0x3f116cb1, v37, -v23
	v_mul_f32_e32 v39, 0xbf788fa5, v7
	v_add_f32_e32 v19, v19, v24
	v_add_f32_e32 v24, v35, v30
	v_fma_f32 v20, 0xbf788fa5, v37, -v20
	v_mul_f32_e32 v30, 0x3f62ad3f, v7
	v_add_f32_e32 v38, v42, v38
	v_add_f32_e32 v22, v22, v25
	;; [unrolled: 1-line block ×3, first 2 shown]
	v_fmamk_f32 v25, v6, 0xbe750f2a, v39
	v_mul_f32_e32 v28, 0x3eedf032, v34
	v_fmac_f32_e32 v39, 0x3e750f2a, v6
	v_add_f32_e32 v20, v20, v21
	v_fmamk_f32 v21, v6, 0xbeedf032, v30
	v_mul_f32_e32 v34, 0xbf6f5d39, v34
	v_add_f32_e32 v25, v25, v31
	v_fmamk_f32 v31, v37, 0x3f62ad3f, v28
	v_add_f32_e32 v35, v39, v38
	v_fma_f32 v28, 0x3f62ad3f, v37, -v28
	v_add_f32_e32 v21, v21, v27
	v_fmamk_f32 v27, v37, 0xbeb58ec6, v34
	v_mul_f32_e32 v7, 0xbeb58ec6, v7
	v_add_f32_e32 v38, v4, v5
	v_fmac_f32_e32 v30, 0x3eedf032, v6
	v_add_f32_e32 v28, v28, v32
	v_sub_f32_e32 v32, v4, v5
	v_add_f32_e32 v27, v27, v29
	v_fmamk_f32 v29, v6, 0x3f6f5d39, v7
	v_fma_f32 v4, 0xbeb58ec6, v37, -v34
	v_fmac_f32_e32 v7, 0xbf6f5d39, v6
	v_sub_f32_e32 v34, v2, v3
	v_mul_f32_e32 v5, 0xbf788fa5, v38
	v_add_f32_e32 v31, v31, v33
	v_add_f32_e32 v30, v30, v36
	;; [unrolled: 1-line block ×3, first 2 shown]
	v_mul_f32_e32 v36, 0xbe750f2a, v32
	v_add_f32_e32 v37, v7, v9
	v_fmamk_f32 v3, v34, 0x3e750f2a, v5
	v_mul_f32_e32 v7, 0x3eedf032, v32
	v_add_f32_e32 v26, v29, v26
	v_fmamk_f32 v2, v33, 0xbf788fa5, v36
	v_add_f32_e32 v29, v4, v8
	v_fma_f32 v4, 0xbf788fa5, v33, -v36
	v_fmac_f32_e32 v5, 0xbe750f2a, v34
	v_mul_f32_e32 v9, 0x3f62ad3f, v38
	v_add_f32_e32 v3, v3, v11
	v_fmamk_f32 v6, v33, 0x3f62ad3f, v7
	v_mul_f32_e32 v11, 0xbf29c268, v32
	v_add_f32_e32 v2, v2, v10
	v_add_f32_e32 v4, v4, v14
	;; [unrolled: 1-line block ×3, first 2 shown]
	v_fmamk_f32 v8, v34, 0xbeedf032, v9
	v_add_f32_e32 v6, v6, v15
	v_fma_f32 v10, 0x3f62ad3f, v33, -v7
	v_fmac_f32_e32 v9, 0x3eedf032, v34
	v_fmamk_f32 v13, v33, 0xbf3f9e67, v11
	v_mul_f32_e32 v14, 0xbf3f9e67, v38
	v_mul_f32_e32 v15, 0x3f52af12, v32
	v_add_f32_e32 v7, v8, v17
	v_add_f32_e32 v8, v10, v12
	;; [unrolled: 1-line block ×4, first 2 shown]
	v_fmamk_f32 v12, v34, 0x3f29c268, v14
	v_fma_f32 v13, 0xbf3f9e67, v33, -v11
	v_fmac_f32_e32 v14, 0xbf29c268, v34
	v_fmamk_f32 v16, v33, 0x3f116cb1, v15
	v_mul_f32_e32 v17, 0x3f116cb1, v38
	v_mul_f32_e32 v18, 0xbf6f5d39, v32
	v_add_f32_e32 v11, v12, v22
	v_add_f32_e32 v12, v13, v23
	;; [unrolled: 1-line block ×4, first 2 shown]
	v_fmamk_f32 v16, v34, 0xbf52af12, v17
	v_fma_f32 v19, 0x3f116cb1, v33, -v15
	v_fmamk_f32 v23, v33, 0xbeb58ec6, v18
	v_mul_f32_e32 v22, 0xbeb58ec6, v38
	v_fmac_f32_e32 v17, 0x3f52af12, v34
	v_add_f32_e32 v15, v16, v25
	v_add_f32_e32 v16, v19, v20
	v_fma_f32 v20, 0xbeb58ec6, v33, -v18
	v_add_f32_e32 v18, v23, v31
	v_mul_f32_e32 v23, 0x3f7e222b, v32
	v_mul_f32_e32 v25, 0x3df6dbef, v38
	v_fmamk_f32 v19, v34, 0x3f6f5d39, v22
	v_add_f32_e32 v20, v20, v28
	v_fmac_f32_e32 v22, 0xbf6f5d39, v34
	v_fmamk_f32 v24, v33, 0x3df6dbef, v23
	v_fmamk_f32 v28, v34, 0xbf7e222b, v25
	v_fma_f32 v31, 0x3df6dbef, v33, -v23
	v_fmac_f32_e32 v25, 0x3f7e222b, v34
	ds_write_b64 v105, v[0:1]
	ds_write2_b64 v105, v[2:3], v[6:7] offset0:102 offset1:204
	v_add_nc_u32_e32 v3, 0x800, v105
	v_add_nc_u32_e32 v2, 0x1400, v105
	;; [unrolled: 1-line block ×4, first 2 shown]
	v_add_f32_e32 v19, v19, v21
	v_add_f32_e32 v21, v22, v30
	;; [unrolled: 1-line block ×4, first 2 shown]
	v_add_nc_u32_e32 v6, 0xc00, v105
	v_add_f32_e32 v24, v31, v29
	v_add_f32_e32 v25, v25, v37
	;; [unrolled: 1-line block ×3, first 2 shown]
	ds_write2_b64 v3, v[10:11], v[14:15] offset0:50 offset1:152
	ds_write2_b64 v6, v[18:19], v[22:23] offset0:126 offset1:228
	;; [unrolled: 1-line block ×5, first 2 shown]
	s_waitcnt lgkmcnt(0)
	s_barrier
	buffer_gl0_inv
	s_and_b32 exec_lo, exec_lo, vcc_lo
	s_cbranch_execz .LBB0_23
; %bb.22:
	global_load_dwordx2 v[4:5], v101, s[12:13]
	ds_read_b64 v[6:7], v105
	s_mov_b32 s0, 0x18b64019
	s_mov_b32 s1, 0x3f48b640
	v_mad_u64_u32 v[10:11], null, s4, v102, 0
	s_mul_i32 s2, s5, 0x270
	s_mul_i32 s3, s4, 0x270
	s_waitcnt vmcnt(0) lgkmcnt(0)
	v_mul_f32_e32 v8, v7, v5
	v_mul_f32_e32 v5, v6, v5
	v_fmac_f32_e32 v8, v6, v4
	v_fma_f32 v6, v4, v7, -v5
	v_cvt_f64_f32_e32 v[4:5], v8
	v_cvt_f64_f32_e32 v[6:7], v6
	v_mad_u64_u32 v[8:9], null, s6, v82, 0
	v_mad_u64_u32 v[12:13], null, s7, v82, v[9:10]
	;; [unrolled: 1-line block ×3, first 2 shown]
	v_mov_b32_e32 v9, v12
	s_mul_hi_u32 s5, s4, 0x270
	v_mul_f64 v[4:5], v[4:5], s[0:1]
	v_mul_f64 v[6:7], v[6:7], s[0:1]
	s_add_i32 s2, s5, s2
	v_add_co_u32 v14, s4, s12, v101
	v_mov_b32_e32 v11, v13
	v_add_co_ci_u32_e64 v15, null, s13, 0, s4
	v_cvt_f32_f64_e32 v4, v[4:5]
	v_cvt_f32_f64_e32 v5, v[6:7]
	v_lshlrev_b64 v[6:7], 3, v[8:9]
	v_lshlrev_b64 v[8:9], 3, v[10:11]
	v_add_co_u32 v6, vcc_lo, s14, v6
	v_add_co_ci_u32_e32 v7, vcc_lo, s15, v7, vcc_lo
	v_add_co_u32 v8, vcc_lo, v6, v8
	v_add_co_ci_u32_e32 v9, vcc_lo, v7, v9, vcc_lo
	global_store_dwordx2 v[8:9], v[4:5], off
	global_load_dwordx2 v[10:11], v101, s[12:13] offset:624
	ds_read2_b64 v[4:7], v105 offset0:78 offset1:156
	v_add_co_u32 v8, vcc_lo, v8, s3
	v_add_co_ci_u32_e32 v9, vcc_lo, s2, v9, vcc_lo
	s_waitcnt vmcnt(0) lgkmcnt(0)
	v_mul_f32_e32 v12, v5, v11
	v_mul_f32_e32 v11, v4, v11
	v_fmac_f32_e32 v12, v4, v10
	v_fma_f32 v10, v10, v5, -v11
	v_cvt_f64_f32_e32 v[4:5], v12
	v_cvt_f64_f32_e32 v[10:11], v10
	v_mul_f64 v[4:5], v[4:5], s[0:1]
	v_mul_f64 v[10:11], v[10:11], s[0:1]
	v_cvt_f32_f64_e32 v4, v[4:5]
	v_cvt_f32_f64_e32 v5, v[10:11]
	global_store_dwordx2 v[8:9], v[4:5], off
	global_load_dwordx2 v[4:5], v101, s[12:13] offset:1248
	v_add_co_u32 v8, vcc_lo, v8, s3
	v_add_co_ci_u32_e32 v9, vcc_lo, s2, v9, vcc_lo
	s_waitcnt vmcnt(0)
	v_mul_f32_e32 v10, v7, v5
	v_mul_f32_e32 v5, v6, v5
	v_fmac_f32_e32 v10, v6, v4
	v_fma_f32 v6, v4, v7, -v5
	v_cvt_f64_f32_e32 v[4:5], v10
	v_cvt_f64_f32_e32 v[6:7], v6
	v_mul_f64 v[4:5], v[4:5], s[0:1]
	v_mul_f64 v[6:7], v[6:7], s[0:1]
	v_cvt_f32_f64_e32 v4, v[4:5]
	v_cvt_f32_f64_e32 v5, v[6:7]
	global_store_dwordx2 v[8:9], v[4:5], off
	global_load_dwordx2 v[10:11], v101, s[12:13] offset:1872
	v_add_nc_u32_e32 v4, 0x400, v105
	v_add_co_u32 v8, vcc_lo, v8, s3
	v_add_co_ci_u32_e32 v9, vcc_lo, s2, v9, vcc_lo
	ds_read2_b64 v[4:7], v4 offset0:106 offset1:184
	s_waitcnt vmcnt(0) lgkmcnt(0)
	v_mul_f32_e32 v12, v5, v11
	v_mul_f32_e32 v11, v4, v11
	v_fmac_f32_e32 v12, v4, v10
	v_fma_f32 v10, v10, v5, -v11
	v_cvt_f64_f32_e32 v[4:5], v12
	v_cvt_f64_f32_e32 v[10:11], v10
	v_mul_f64 v[4:5], v[4:5], s[0:1]
	v_mul_f64 v[10:11], v[10:11], s[0:1]
	v_cvt_f32_f64_e32 v4, v[4:5]
	v_cvt_f32_f64_e32 v5, v[10:11]
	v_add_co_u32 v10, vcc_lo, 0x800, v14
	v_add_co_ci_u32_e32 v11, vcc_lo, 0, v15, vcc_lo
	global_store_dwordx2 v[8:9], v[4:5], off
	global_load_dwordx2 v[4:5], v[10:11], off offset:448
	s_waitcnt vmcnt(0)
	v_mul_f32_e32 v12, v7, v5
	v_mul_f32_e32 v5, v6, v5
	v_fmac_f32_e32 v12, v6, v4
	v_fma_f32 v6, v4, v7, -v5
	v_cvt_f64_f32_e32 v[4:5], v12
	v_cvt_f64_f32_e32 v[6:7], v6
	v_mul_f64 v[4:5], v[4:5], s[0:1]
	v_mul_f64 v[6:7], v[6:7], s[0:1]
	v_cvt_f32_f64_e32 v4, v[4:5]
	v_cvt_f32_f64_e32 v5, v[6:7]
	v_add_co_u32 v7, vcc_lo, v8, s3
	v_add_co_ci_u32_e32 v8, vcc_lo, s2, v9, vcc_lo
	global_store_dwordx2 v[7:8], v[4:5], off
	global_load_dwordx2 v[12:13], v[10:11], off offset:1072
	ds_read2_b64 v[3:6], v3 offset0:134 offset1:212
	v_add_co_u32 v7, vcc_lo, v7, s3
	v_add_co_ci_u32_e32 v8, vcc_lo, s2, v8, vcc_lo
	s_waitcnt vmcnt(0) lgkmcnt(0)
	v_mul_f32_e32 v9, v4, v13
	v_mul_f32_e32 v13, v3, v13
	v_fmac_f32_e32 v9, v3, v12
	v_fma_f32 v12, v12, v4, -v13
	v_cvt_f64_f32_e32 v[3:4], v9
	v_cvt_f64_f32_e32 v[12:13], v12
	v_mul_f64 v[3:4], v[3:4], s[0:1]
	v_mul_f64 v[12:13], v[12:13], s[0:1]
	v_cvt_f32_f64_e32 v3, v[3:4]
	v_cvt_f32_f64_e32 v4, v[12:13]
	global_store_dwordx2 v[7:8], v[3:4], off
	global_load_dwordx2 v[3:4], v[10:11], off offset:1696
	v_add_co_u32 v7, vcc_lo, v7, s3
	v_add_co_ci_u32_e32 v8, vcc_lo, s2, v8, vcc_lo
	s_waitcnt vmcnt(0)
	v_mul_f32_e32 v9, v6, v4
	v_mul_f32_e32 v4, v5, v4
	v_fmac_f32_e32 v9, v5, v3
	v_fma_f32 v5, v3, v6, -v4
	v_cvt_f64_f32_e32 v[3:4], v9
	v_cvt_f64_f32_e32 v[5:6], v5
	v_add_co_u32 v9, vcc_lo, 0x1000, v14
	v_add_co_ci_u32_e32 v10, vcc_lo, 0, v15, vcc_lo
	v_mul_f64 v[3:4], v[3:4], s[0:1]
	v_mul_f64 v[5:6], v[5:6], s[0:1]
	v_cvt_f32_f64_e32 v3, v[3:4]
	v_cvt_f32_f64_e32 v4, v[5:6]
	global_store_dwordx2 v[7:8], v[3:4], off
	global_load_dwordx2 v[11:12], v[9:10], off offset:272
	v_add_nc_u32_e32 v3, 0x1000, v105
	v_add_co_u32 v7, vcc_lo, v7, s3
	v_add_co_ci_u32_e32 v8, vcc_lo, s2, v8, vcc_lo
	ds_read2_b64 v[3:6], v3 offset0:34 offset1:112
	s_waitcnt vmcnt(0) lgkmcnt(0)
	v_mul_f32_e32 v13, v4, v12
	v_mul_f32_e32 v12, v3, v12
	v_fmac_f32_e32 v13, v3, v11
	v_fma_f32 v11, v11, v4, -v12
	v_cvt_f64_f32_e32 v[3:4], v13
	v_cvt_f64_f32_e32 v[11:12], v11
	v_mul_f64 v[3:4], v[3:4], s[0:1]
	v_mul_f64 v[11:12], v[11:12], s[0:1]
	v_cvt_f32_f64_e32 v3, v[3:4]
	v_cvt_f32_f64_e32 v4, v[11:12]
	global_store_dwordx2 v[7:8], v[3:4], off
	global_load_dwordx2 v[3:4], v[9:10], off offset:896
	s_waitcnt vmcnt(0)
	v_mul_f32_e32 v11, v6, v4
	v_mul_f32_e32 v4, v5, v4
	v_fmac_f32_e32 v11, v5, v3
	v_fma_f32 v5, v3, v6, -v4
	v_cvt_f64_f32_e32 v[3:4], v11
	v_cvt_f64_f32_e32 v[5:6], v5
	v_mul_f64 v[3:4], v[3:4], s[0:1]
	v_mul_f64 v[5:6], v[5:6], s[0:1]
	v_cvt_f32_f64_e32 v3, v[3:4]
	v_cvt_f32_f64_e32 v4, v[5:6]
	v_add_co_u32 v6, vcc_lo, v7, s3
	v_add_co_ci_u32_e32 v7, vcc_lo, s2, v8, vcc_lo
	global_store_dwordx2 v[6:7], v[3:4], off
	global_load_dwordx2 v[8:9], v[9:10], off offset:1520
	ds_read2_b64 v[2:5], v2 offset0:62 offset1:140
	v_add_co_u32 v6, vcc_lo, v6, s3
	v_add_co_ci_u32_e32 v7, vcc_lo, s2, v7, vcc_lo
	s_waitcnt vmcnt(0) lgkmcnt(0)
	v_mul_f32_e32 v10, v3, v9
	v_mul_f32_e32 v9, v2, v9
	v_fmac_f32_e32 v10, v2, v8
	v_fma_f32 v8, v8, v3, -v9
	v_cvt_f64_f32_e32 v[2:3], v10
	v_cvt_f64_f32_e32 v[8:9], v8
	v_mul_f64 v[2:3], v[2:3], s[0:1]
	v_mul_f64 v[8:9], v[8:9], s[0:1]
	v_cvt_f32_f64_e32 v2, v[2:3]
	v_cvt_f32_f64_e32 v3, v[8:9]
	v_add_co_u32 v8, vcc_lo, 0x1800, v14
	v_add_co_ci_u32_e32 v9, vcc_lo, 0, v15, vcc_lo
	global_store_dwordx2 v[6:7], v[2:3], off
	global_load_dwordx2 v[2:3], v[8:9], off offset:96
	s_waitcnt vmcnt(0)
	v_mul_f32_e32 v10, v5, v3
	v_mul_f32_e32 v3, v4, v3
	v_fmac_f32_e32 v10, v4, v2
	v_fma_f32 v4, v2, v5, -v3
	v_cvt_f64_f32_e32 v[2:3], v10
	v_cvt_f64_f32_e32 v[4:5], v4
	v_mul_f64 v[2:3], v[2:3], s[0:1]
	v_mul_f64 v[4:5], v[4:5], s[0:1]
	v_cvt_f32_f64_e32 v2, v[2:3]
	v_cvt_f32_f64_e32 v3, v[4:5]
	v_add_co_u32 v5, vcc_lo, v6, s3
	v_add_co_ci_u32_e32 v6, vcc_lo, s2, v7, vcc_lo
	global_store_dwordx2 v[5:6], v[2:3], off
	global_load_dwordx2 v[10:11], v[8:9], off offset:720
	ds_read2_b64 v[1:4], v1 offset0:90 offset1:168
	v_add_co_u32 v5, vcc_lo, v5, s3
	v_add_co_ci_u32_e32 v6, vcc_lo, s2, v6, vcc_lo
	s_waitcnt vmcnt(0) lgkmcnt(0)
	v_mul_f32_e32 v7, v2, v11
	v_mul_f32_e32 v11, v1, v11
	v_fmac_f32_e32 v7, v1, v10
	v_fma_f32 v10, v10, v2, -v11
	v_cvt_f64_f32_e32 v[1:2], v7
	v_cvt_f64_f32_e32 v[10:11], v10
	v_mul_f64 v[1:2], v[1:2], s[0:1]
	v_mul_f64 v[10:11], v[10:11], s[0:1]
	v_cvt_f32_f64_e32 v1, v[1:2]
	v_cvt_f32_f64_e32 v2, v[10:11]
	global_store_dwordx2 v[5:6], v[1:2], off
	global_load_dwordx2 v[1:2], v[8:9], off offset:1344
	v_add_co_u32 v5, vcc_lo, v5, s3
	v_add_co_ci_u32_e32 v6, vcc_lo, s2, v6, vcc_lo
	s_waitcnt vmcnt(0)
	v_mul_f32_e32 v7, v4, v2
	v_mul_f32_e32 v2, v3, v2
	v_fmac_f32_e32 v7, v3, v1
	v_fma_f32 v3, v1, v4, -v2
	v_cvt_f64_f32_e32 v[1:2], v7
	v_cvt_f64_f32_e32 v[3:4], v3
	v_mul_f64 v[1:2], v[1:2], s[0:1]
	v_mul_f64 v[3:4], v[3:4], s[0:1]
	v_cvt_f32_f64_e32 v1, v[1:2]
	v_cvt_f32_f64_e32 v2, v[3:4]
	global_store_dwordx2 v[5:6], v[1:2], off
	global_load_dwordx2 v[7:8], v[8:9], off offset:1968
	v_add_nc_u32_e32 v1, 0x1c00, v105
	v_add_co_u32 v5, vcc_lo, v5, s3
	v_add_co_ci_u32_e32 v6, vcc_lo, s2, v6, vcc_lo
	ds_read2_b64 v[1:4], v1 offset0:118 offset1:196
	s_waitcnt vmcnt(0) lgkmcnt(0)
	v_mul_f32_e32 v9, v2, v8
	v_mul_f32_e32 v8, v1, v8
	v_fmac_f32_e32 v9, v1, v7
	v_fma_f32 v7, v7, v2, -v8
	v_cvt_f64_f32_e32 v[1:2], v9
	v_cvt_f64_f32_e32 v[7:8], v7
	v_mul_f64 v[1:2], v[1:2], s[0:1]
	v_mul_f64 v[7:8], v[7:8], s[0:1]
	v_cvt_f32_f64_e32 v1, v[1:2]
	v_cvt_f32_f64_e32 v2, v[7:8]
	v_add_co_u32 v7, vcc_lo, 0x2000, v14
	v_add_co_ci_u32_e32 v8, vcc_lo, 0, v15, vcc_lo
	global_store_dwordx2 v[5:6], v[1:2], off
	global_load_dwordx2 v[1:2], v[7:8], off offset:544
	s_waitcnt vmcnt(0)
	v_mul_f32_e32 v9, v4, v2
	v_mul_f32_e32 v2, v3, v2
	v_fmac_f32_e32 v9, v3, v1
	v_fma_f32 v3, v1, v4, -v2
	v_cvt_f64_f32_e32 v[1:2], v9
	v_cvt_f64_f32_e32 v[3:4], v3
	v_mul_f64 v[1:2], v[1:2], s[0:1]
	v_mul_f64 v[3:4], v[3:4], s[0:1]
	v_cvt_f32_f64_e32 v1, v[1:2]
	v_cvt_f32_f64_e32 v2, v[3:4]
	v_add_co_u32 v4, vcc_lo, v5, s3
	v_add_co_ci_u32_e32 v5, vcc_lo, s2, v6, vcc_lo
	global_store_dwordx2 v[4:5], v[1:2], off
	global_load_dwordx2 v[9:10], v[7:8], off offset:1168
	ds_read2_b64 v[0:3], v0 offset0:146 offset1:224
	v_add_co_u32 v4, vcc_lo, v4, s3
	v_add_co_ci_u32_e32 v5, vcc_lo, s2, v5, vcc_lo
	s_waitcnt vmcnt(0) lgkmcnt(0)
	v_mul_f32_e32 v6, v1, v10
	v_mul_f32_e32 v10, v0, v10
	v_fmac_f32_e32 v6, v0, v9
	v_fma_f32 v9, v9, v1, -v10
	v_cvt_f64_f32_e32 v[0:1], v6
	v_cvt_f64_f32_e32 v[9:10], v9
	v_mul_f64 v[0:1], v[0:1], s[0:1]
	v_mul_f64 v[9:10], v[9:10], s[0:1]
	v_cvt_f32_f64_e32 v0, v[0:1]
	v_cvt_f32_f64_e32 v1, v[9:10]
	global_store_dwordx2 v[4:5], v[0:1], off
	global_load_dwordx2 v[0:1], v[7:8], off offset:1792
	s_waitcnt vmcnt(0)
	v_mul_f32_e32 v6, v3, v1
	v_mul_f32_e32 v1, v2, v1
	v_fmac_f32_e32 v6, v2, v0
	v_fma_f32 v2, v0, v3, -v1
	v_cvt_f64_f32_e32 v[0:1], v6
	v_cvt_f64_f32_e32 v[2:3], v2
	v_mul_f64 v[0:1], v[0:1], s[0:1]
	v_mul_f64 v[2:3], v[2:3], s[0:1]
	v_cvt_f32_f64_e32 v0, v[0:1]
	v_cvt_f32_f64_e32 v1, v[2:3]
	v_add_co_u32 v2, vcc_lo, v4, s3
	v_add_co_ci_u32_e32 v3, vcc_lo, s2, v5, vcc_lo
	global_store_dwordx2 v[2:3], v[0:1], off
.LBB0_23:
	s_endpgm
	.section	.rodata,"a",@progbits
	.p2align	6, 0x0
	.amdhsa_kernel bluestein_single_fwd_len1326_dim1_sp_op_CI_CI
		.amdhsa_group_segment_fixed_size 21216
		.amdhsa_private_segment_fixed_size 0
		.amdhsa_kernarg_size 104
		.amdhsa_user_sgpr_count 6
		.amdhsa_user_sgpr_private_segment_buffer 1
		.amdhsa_user_sgpr_dispatch_ptr 0
		.amdhsa_user_sgpr_queue_ptr 0
		.amdhsa_user_sgpr_kernarg_segment_ptr 1
		.amdhsa_user_sgpr_dispatch_id 0
		.amdhsa_user_sgpr_flat_scratch_init 0
		.amdhsa_user_sgpr_private_segment_size 0
		.amdhsa_wavefront_size32 1
		.amdhsa_uses_dynamic_stack 0
		.amdhsa_system_sgpr_private_segment_wavefront_offset 0
		.amdhsa_system_sgpr_workgroup_id_x 1
		.amdhsa_system_sgpr_workgroup_id_y 0
		.amdhsa_system_sgpr_workgroup_id_z 0
		.amdhsa_system_sgpr_workgroup_info 0
		.amdhsa_system_vgpr_workitem_id 0
		.amdhsa_next_free_vgpr 239
		.amdhsa_next_free_sgpr 16
		.amdhsa_reserve_vcc 1
		.amdhsa_reserve_flat_scratch 0
		.amdhsa_float_round_mode_32 0
		.amdhsa_float_round_mode_16_64 0
		.amdhsa_float_denorm_mode_32 3
		.amdhsa_float_denorm_mode_16_64 3
		.amdhsa_dx10_clamp 1
		.amdhsa_ieee_mode 1
		.amdhsa_fp16_overflow 0
		.amdhsa_workgroup_processor_mode 1
		.amdhsa_memory_ordered 1
		.amdhsa_forward_progress 0
		.amdhsa_shared_vgpr_count 0
		.amdhsa_exception_fp_ieee_invalid_op 0
		.amdhsa_exception_fp_denorm_src 0
		.amdhsa_exception_fp_ieee_div_zero 0
		.amdhsa_exception_fp_ieee_overflow 0
		.amdhsa_exception_fp_ieee_underflow 0
		.amdhsa_exception_fp_ieee_inexact 0
		.amdhsa_exception_int_div_zero 0
	.end_amdhsa_kernel
	.text
.Lfunc_end0:
	.size	bluestein_single_fwd_len1326_dim1_sp_op_CI_CI, .Lfunc_end0-bluestein_single_fwd_len1326_dim1_sp_op_CI_CI
                                        ; -- End function
	.section	.AMDGPU.csdata,"",@progbits
; Kernel info:
; codeLenInByte = 24148
; NumSgprs: 18
; NumVgprs: 239
; ScratchSize: 0
; MemoryBound: 0
; FloatMode: 240
; IeeeMode: 1
; LDSByteSize: 21216 bytes/workgroup (compile time only)
; SGPRBlocks: 2
; VGPRBlocks: 29
; NumSGPRsForWavesPerEU: 18
; NumVGPRsForWavesPerEU: 239
; Occupancy: 4
; WaveLimiterHint : 1
; COMPUTE_PGM_RSRC2:SCRATCH_EN: 0
; COMPUTE_PGM_RSRC2:USER_SGPR: 6
; COMPUTE_PGM_RSRC2:TRAP_HANDLER: 0
; COMPUTE_PGM_RSRC2:TGID_X_EN: 1
; COMPUTE_PGM_RSRC2:TGID_Y_EN: 0
; COMPUTE_PGM_RSRC2:TGID_Z_EN: 0
; COMPUTE_PGM_RSRC2:TIDIG_COMP_CNT: 0
	.text
	.p2alignl 6, 3214868480
	.fill 48, 4, 3214868480
	.type	__hip_cuid_1d055389ba5eaa3a,@object ; @__hip_cuid_1d055389ba5eaa3a
	.section	.bss,"aw",@nobits
	.globl	__hip_cuid_1d055389ba5eaa3a
__hip_cuid_1d055389ba5eaa3a:
	.byte	0                               ; 0x0
	.size	__hip_cuid_1d055389ba5eaa3a, 1

	.ident	"AMD clang version 19.0.0git (https://github.com/RadeonOpenCompute/llvm-project roc-6.4.0 25133 c7fe45cf4b819c5991fe208aaa96edf142730f1d)"
	.section	".note.GNU-stack","",@progbits
	.addrsig
	.addrsig_sym __hip_cuid_1d055389ba5eaa3a
	.amdgpu_metadata
---
amdhsa.kernels:
  - .args:
      - .actual_access:  read_only
        .address_space:  global
        .offset:         0
        .size:           8
        .value_kind:     global_buffer
      - .actual_access:  read_only
        .address_space:  global
        .offset:         8
        .size:           8
        .value_kind:     global_buffer
      - .actual_access:  read_only
        .address_space:  global
        .offset:         16
        .size:           8
        .value_kind:     global_buffer
      - .actual_access:  read_only
        .address_space:  global
        .offset:         24
        .size:           8
        .value_kind:     global_buffer
      - .actual_access:  read_only
        .address_space:  global
        .offset:         32
        .size:           8
        .value_kind:     global_buffer
      - .offset:         40
        .size:           8
        .value_kind:     by_value
      - .address_space:  global
        .offset:         48
        .size:           8
        .value_kind:     global_buffer
      - .address_space:  global
        .offset:         56
        .size:           8
        .value_kind:     global_buffer
      - .address_space:  global
        .offset:         64
        .size:           8
        .value_kind:     global_buffer
      - .address_space:  global
        .offset:         72
        .size:           8
        .value_kind:     global_buffer
      - .offset:         80
        .size:           4
        .value_kind:     by_value
      - .address_space:  global
        .offset:         88
        .size:           8
        .value_kind:     global_buffer
      - .address_space:  global
        .offset:         96
        .size:           8
        .value_kind:     global_buffer
    .group_segment_fixed_size: 21216
    .kernarg_segment_align: 8
    .kernarg_segment_size: 104
    .language:       OpenCL C
    .language_version:
      - 2
      - 0
    .max_flat_workgroup_size: 204
    .name:           bluestein_single_fwd_len1326_dim1_sp_op_CI_CI
    .private_segment_fixed_size: 0
    .sgpr_count:     18
    .sgpr_spill_count: 0
    .symbol:         bluestein_single_fwd_len1326_dim1_sp_op_CI_CI.kd
    .uniform_work_group_size: 1
    .uses_dynamic_stack: false
    .vgpr_count:     239
    .vgpr_spill_count: 0
    .wavefront_size: 32
    .workgroup_processor_mode: 1
amdhsa.target:   amdgcn-amd-amdhsa--gfx1030
amdhsa.version:
  - 1
  - 2
...

	.end_amdgpu_metadata
